;; amdgpu-corpus repo=ROCm/rocFFT kind=compiled arch=gfx1201 opt=O3
	.text
	.amdgcn_target "amdgcn-amd-amdhsa--gfx1201"
	.amdhsa_code_object_version 6
	.protected	bluestein_single_fwd_len1200_dim1_sp_op_CI_CI ; -- Begin function bluestein_single_fwd_len1200_dim1_sp_op_CI_CI
	.globl	bluestein_single_fwd_len1200_dim1_sp_op_CI_CI
	.p2align	8
	.type	bluestein_single_fwd_len1200_dim1_sp_op_CI_CI,@function
bluestein_single_fwd_len1200_dim1_sp_op_CI_CI: ; @bluestein_single_fwd_len1200_dim1_sp_op_CI_CI
; %bb.0:
	s_load_b128 s[8:11], s[0:1], 0x28
	v_mul_u32_u24_e32 v1, 0x36a, v0
	s_mov_b32 s2, exec_lo
	s_delay_alu instid0(VALU_DEP_1) | instskip(NEXT) | instid1(VALU_DEP_1)
	v_lshrrev_b32_e32 v1, 16, v1
	v_mad_co_u64_u32 v[126:127], null, ttmp9, 3, v[1:2]
	v_mov_b32_e32 v127, 0
	s_wait_kmcnt 0x0
	s_delay_alu instid0(VALU_DEP_1)
	v_cmpx_gt_u64_e64 s[8:9], v[126:127]
	s_cbranch_execz .LBB0_31
; %bb.1:
	s_clause 0x1
	s_load_b128 s[4:7], s[0:1], 0x18
	s_load_b64 s[16:17], s[0:1], 0x0
	v_mul_lo_u16 v1, 0x4b, v1
	s_movk_i32 s2, 0xfc8b
	s_mov_b32 s3, -1
	s_delay_alu instid0(VALU_DEP_1) | instskip(NEXT) | instid1(VALU_DEP_1)
	v_sub_nc_u16 v39, v0, v1
	v_and_b32_e32 v162, 0xffff, v39
	s_wait_kmcnt 0x0
	s_load_b128 s[12:15], s[4:5], 0x0
	s_wait_kmcnt 0x0
	v_mad_co_u64_u32 v[0:1], null, s14, v126, 0
	v_mad_co_u64_u32 v[2:3], null, s12, v162, 0
	s_mul_u64 s[4:5], s[12:13], 0xf0
	s_mul_u64 s[2:3], s[12:13], s[2:3]
	s_delay_alu instid0(SALU_CYCLE_1) | instskip(NEXT) | instid1(VALU_DEP_1)
	s_lshl_b64 s[2:3], s[2:3], 3
	v_mad_co_u64_u32 v[4:5], null, s15, v126, v[1:2]
	s_delay_alu instid0(VALU_DEP_1) | instskip(NEXT) | instid1(VALU_DEP_3)
	v_mov_b32_e32 v1, v4
	v_mad_co_u64_u32 v[5:6], null, s13, v162, v[3:4]
	v_lshlrev_b32_e32 v159, 3, v162
	s_clause 0x3
	global_load_b64 v[149:150], v159, s[16:17]
	global_load_b64 v[143:144], v159, s[16:17] offset:600
	global_load_b64 v[135:136], v159, s[16:17] offset:2520
	;; [unrolled: 1-line block ×3, first 2 shown]
	v_mov_b32_e32 v3, v5
	v_lshlrev_b64_e32 v[0:1], 3, v[0:1]
	s_clause 0x9
	global_load_b64 v[147:148], v159, s[16:17] offset:7680
	global_load_b64 v[139:140], v159, s[16:17] offset:8280
	;; [unrolled: 1-line block ×10, first 2 shown]
	v_lshlrev_b64_e32 v[2:3], 3, v[2:3]
	v_add_co_u32 v0, vcc_lo, s10, v0
	v_add_co_ci_u32_e32 v1, vcc_lo, s11, v1, vcc_lo
	s_lshl_b64 s[10:11], s[4:5], 3
	s_delay_alu instid0(VALU_DEP_2) | instskip(SKIP_1) | instid1(VALU_DEP_2)
	v_add_co_u32 v0, vcc_lo, v0, v2
	s_wait_alu 0xfffd
	v_add_co_ci_u32_e32 v1, vcc_lo, v1, v3, vcc_lo
	s_wait_alu 0xfffe
	s_delay_alu instid0(VALU_DEP_2) | instskip(SKIP_1) | instid1(VALU_DEP_2)
	v_add_co_u32 v2, vcc_lo, v0, s10
	s_wait_alu 0xfffd
	v_add_co_ci_u32_e32 v3, vcc_lo, s11, v1, vcc_lo
	global_load_b64 v[6:7], v[0:1], off
	v_add_co_u32 v4, vcc_lo, v2, s10
	s_wait_alu 0xfffd
	v_add_co_ci_u32_e32 v5, vcc_lo, s11, v3, vcc_lo
	s_delay_alu instid0(VALU_DEP_2) | instskip(SKIP_1) | instid1(VALU_DEP_2)
	v_add_co_u32 v0, vcc_lo, v4, s10
	s_wait_alu 0xfffd
	v_add_co_ci_u32_e32 v1, vcc_lo, s11, v5, vcc_lo
	s_clause 0x2
	global_load_b64 v[2:3], v[2:3], off
	global_load_b64 v[4:5], v[4:5], off
	;; [unrolled: 1-line block ×3, first 2 shown]
	v_add_co_u32 v8, vcc_lo, v0, s10
	s_wait_alu 0xfffd
	v_add_co_ci_u32_e32 v9, vcc_lo, s11, v1, vcc_lo
	s_delay_alu instid0(VALU_DEP_2) | instskip(SKIP_1) | instid1(VALU_DEP_2)
	v_add_co_u32 v0, vcc_lo, v8, s2
	s_wait_alu 0xfffd
	v_add_co_ci_u32_e32 v1, vcc_lo, s3, v9, vcc_lo
	global_load_b64 v[13:14], v[8:9], off
	v_add_co_u32 v8, vcc_lo, v0, s10
	s_wait_alu 0xfffd
	v_add_co_ci_u32_e32 v9, vcc_lo, s11, v1, vcc_lo
	global_load_b64 v[15:16], v[0:1], off
	;; [unrolled: 4-line block ×8, first 2 shown]
	v_add_co_u32 v29, vcc_lo, v8, s10
	global_load_b64 v[31:32], v[8:9], off
	v_mul_hi_u32 v8, 0xaaaaaaab, v126
	s_wait_alu 0xfffd
	v_add_co_ci_u32_e32 v30, vcc_lo, s11, v9, vcc_lo
	v_add_co_u32 v0, vcc_lo, v29, s10
	s_wait_alu 0xfffd
	s_delay_alu instid0(VALU_DEP_2) | instskip(NEXT) | instid1(VALU_DEP_4)
	v_add_co_ci_u32_e32 v1, vcc_lo, s11, v30, vcc_lo
	v_lshrrev_b32_e32 v8, 1, v8
	v_cmp_gt_u16_e32 vcc_lo, 15, v39
	s_delay_alu instid0(VALU_DEP_2) | instskip(NEXT) | instid1(VALU_DEP_1)
	v_lshl_add_u32 v8, v8, 1, v8
	v_sub_nc_u32_e32 v8, v126, v8
	s_delay_alu instid0(VALU_DEP_1) | instskip(SKIP_1) | instid1(VALU_DEP_1)
	v_mul_u32_u24_e32 v8, 0x4b0, v8
	s_wait_loadcnt 0xc
	v_dual_mul_f32 v36, v6, v150 :: v_dual_lshlrev_b32 v163, 3, v8
	v_mul_f32_e32 v35, v7, v150
	s_delay_alu instid0(VALU_DEP_2) | instskip(SKIP_1) | instid1(VALU_DEP_2)
	v_fma_f32 v36, v7, v149, -v36
	s_wait_loadcnt 0xb
	v_dual_fmac_f32 v35, v6, v149 :: v_dual_mul_f32 v6, v3, v152
	global_load_b64 v[29:30], v[29:30], off
	global_load_b64 v[141:142], v159, s[16:17] offset:8880
	global_load_b64 v[33:34], v[0:1], off
	s_wait_loadcnt 0xd
	v_dual_mul_f32 v38, v4, v154 :: v_dual_add_nc_u32 v161, v159, v163
	v_mul_f32_e32 v7, v2, v152
	v_dual_mul_f32 v37, v5, v154 :: v_dual_fmac_f32 v6, v2, v151
	s_wait_loadcnt 0xc
	s_delay_alu instid0(VALU_DEP_3) | instskip(SKIP_1) | instid1(VALU_DEP_3)
	v_dual_mul_f32 v2, v12, v156 :: v_dual_add_nc_u32 v9, 0x1800, v161
	v_fma_f32 v38, v5, v153, -v38
	v_fmac_f32_e32 v37, v4, v153
	s_load_b64 s[8:9], s[0:1], 0x38
	s_load_b128 s[4:7], s[6:7], 0x0
	s_wait_loadcnt 0xb
	v_mul_f32_e32 v4, v14, v148
	v_fmac_f32_e32 v2, v11, v155
	v_fma_f32 v7, v3, v151, -v7
	v_mul_f32_e32 v3, v11, v156
	v_mul_f32_e32 v5, v13, v148
	v_fmac_f32_e32 v4, v13, v147
	s_wait_loadcnt 0xa
	v_mul_f32_e32 v40, v15, v144
	v_add_co_u32 v124, s12, s16, v159
	v_fma_f32 v3, v12, v155, -v3
	v_fma_f32 v5, v14, v147, -v5
	ds_store_b64 v161, v[6:7] offset:1920
	ds_store_b64 v161, v[37:38] offset:3840
	;; [unrolled: 1-line block ×4, first 2 shown]
	s_wait_loadcnt 0x9
	v_mul_f32_e32 v2, v18, v136
	v_fma_f32 v12, v16, v143, -v40
	s_wait_loadcnt 0x8
	v_mul_f32_e32 v5, v19, v138
	v_mul_f32_e32 v11, v16, v144
	;; [unrolled: 1-line block ×3, first 2 shown]
	v_fmac_f32_e32 v2, v17, v135
	s_wait_loadcnt 0x7
	v_dual_mul_f32 v3, v17, v136 :: v_dual_mul_f32 v6, v22, v146
	v_fmac_f32_e32 v11, v15, v143
	v_dual_fmac_f32 v4, v19, v137 :: v_dual_mul_f32 v7, v21, v146
	s_delay_alu instid0(VALU_DEP_3)
	v_fma_f32 v3, v18, v135, -v3
	s_wait_loadcnt 0x6
	v_mul_f32_e32 v16, v23, v140
	ds_store_2addr_b64 v161, v[35:36], v[11:12] offset1:75
	v_dual_fmac_f32 v6, v21, v145 :: v_dual_mul_f32 v11, v24, v140
	v_fma_f32 v5, v20, v137, -v5
	s_wait_loadcnt 0x5
	v_mul_f32_e32 v13, v26, v128
	v_mul_f32_e32 v12, v25, v128
	s_wait_alu 0xf1ff
	v_add_co_ci_u32_e64 v125, null, s17, 0, s12
	v_fmac_f32_e32 v11, v23, v139
	s_wait_loadcnt 0x4
	v_dual_mul_f32 v18, v27, v130 :: v_dual_fmac_f32 v13, v25, v127
	v_fma_f32 v14, v26, v127, -v12
	v_mul_f32_e32 v15, v28, v130
	s_wait_loadcnt 0x3
	v_dual_mul_f32 v17, v32, v134 :: v_dual_add_nc_u32 v8, 0x800, v161
	v_add_nc_u32_e32 v10, 0x1000, v161
	ds_store_b64 v161, v[13:14] offset:1200
	v_mul_f32_e32 v14, v31, v134
	v_fma_f32 v12, v24, v139, -v16
	v_fma_f32 v16, v28, v129, -v18
	v_fmac_f32_e32 v17, v31, v133
	v_fma_f32 v7, v22, v145, -v7
	v_fma_f32 v18, v32, v133, -v14
	s_wait_loadcnt 0x2
	v_mul_f32_e32 v20, v29, v132
	v_mul_f32_e32 v13, v30, v132
	s_wait_loadcnt 0x0
	v_mul_f32_e32 v19, v34, v142
	v_mul_f32_e32 v21, v33, v142
	v_fmac_f32_e32 v15, v27, v129
	v_fma_f32 v14, v30, v131, -v20
	v_fmac_f32_e32 v13, v29, v131
	v_fmac_f32_e32 v19, v33, v141
	v_fma_f32 v20, v34, v141, -v21
	v_add_nc_u32_e32 v21, 0x2000, v161
	ds_store_2addr_b64 v8, v[2:3], v[15:16] offset0:59 offset1:134
	ds_store_2addr_b64 v10, v[4:5], v[17:18] offset0:43 offset1:118
	;; [unrolled: 1-line block ×4, first 2 shown]
	s_and_saveexec_b32 s12, vcc_lo
	s_cbranch_execz .LBB0_3
; %bb.2:
	v_add_co_u32 v0, s2, v0, s2
	s_wait_alu 0xf1ff
	v_add_co_ci_u32_e64 v1, s2, s3, v1, s2
	v_add_nc_u32_e32 v28, 0x1600, v161
	s_delay_alu instid0(VALU_DEP_3) | instskip(SKIP_1) | instid1(VALU_DEP_3)
	v_add_co_u32 v2, s2, v0, s10
	s_wait_alu 0xf1ff
	v_add_co_ci_u32_e64 v3, s2, s11, v1, s2
	s_delay_alu instid0(VALU_DEP_2) | instskip(SKIP_1) | instid1(VALU_DEP_2)
	v_add_co_u32 v4, s2, v2, s10
	s_wait_alu 0xf1ff
	v_add_co_ci_u32_e64 v5, s2, s11, v3, s2
	global_load_b64 v[0:1], v[0:1], off
	global_load_b64 v[2:3], v[2:3], off
	s_clause 0x1
	global_load_b64 v[6:7], v[124:125], off offset:1800
	global_load_b64 v[11:12], v[124:125], off offset:3720
	global_load_b64 v[13:14], v[4:5], off
	v_add_co_u32 v4, s2, v4, s10
	s_wait_alu 0xf1ff
	v_add_co_ci_u32_e64 v5, s2, s11, v5, s2
	global_load_b64 v[15:16], v[124:125], off offset:5640
	v_add_co_u32 v17, s2, v4, s10
	s_wait_alu 0xf1ff
	v_add_co_ci_u32_e64 v18, s2, s11, v5, s2
	global_load_b64 v[4:5], v[4:5], off
	s_clause 0x1
	global_load_b64 v[19:20], v[124:125], off offset:7560
	global_load_b64 v[21:22], v[124:125], off offset:9480
	global_load_b64 v[17:18], v[17:18], off
	v_add_nc_u32_e32 v27, 0x700, v161
	s_wait_loadcnt 0x7
	v_mul_f32_e32 v23, v1, v7
	v_mul_f32_e32 v7, v0, v7
	s_wait_loadcnt 0x4
	s_delay_alu instid0(VALU_DEP_2)
	v_dual_fmac_f32 v23, v0, v6 :: v_dual_mul_f32 v0, v14, v16
	v_mul_f32_e32 v25, v3, v12
	v_mul_f32_e32 v12, v2, v12
	v_fma_f32 v24, v1, v6, -v7
	s_wait_loadcnt 0x0
	v_dual_mul_f32 v1, v13, v16 :: v_dual_mul_f32 v6, v18, v22
	v_fmac_f32_e32 v0, v13, v15
	v_fmac_f32_e32 v25, v2, v11
	v_fma_f32 v26, v3, v11, -v12
	v_mul_f32_e32 v2, v5, v20
	v_dual_fmac_f32 v6, v17, v21 :: v_dual_mul_f32 v3, v4, v20
	v_mul_f32_e32 v7, v17, v22
	v_fma_f32 v1, v14, v15, -v1
	s_delay_alu instid0(VALU_DEP_4) | instskip(NEXT) | instid1(VALU_DEP_4)
	v_fmac_f32_e32 v2, v4, v19
	v_fma_f32 v3, v5, v19, -v3
	s_delay_alu instid0(VALU_DEP_4)
	v_fma_f32 v7, v18, v21, -v7
	ds_store_2addr_b64 v27, v[23:24], v[25:26] offset0:1 offset1:241
	ds_store_2addr_b64 v28, v[0:1], v[2:3] offset0:1 offset1:241
	ds_store_b64 v161, v[6:7] offset:9480
.LBB0_3:
	s_wait_alu 0xfffe
	s_or_b32 exec_lo, exec_lo, s12
	v_add_nc_u32_e32 v11, 0xc00, v161
	v_add_nc_u32_e32 v16, 0x1c00, v161
	global_wb scope:SCOPE_SE
	s_wait_dscnt 0x0
	s_wait_kmcnt 0x0
	s_barrier_signal -1
	s_barrier_wait -1
	global_inv scope:SCOPE_SE
	ds_load_2addr_b64 v[0:3], v161 offset1:75
	ds_load_2addr_b64 v[4:7], v161 offset0:150 offset1:240
	ds_load_2addr_b64 v[24:27], v11 offset0:96 offset1:171
	;; [unrolled: 1-line block ×6, first 2 shown]
	ds_load_b64 v[36:37], v161 offset:8880
                                        ; implicit-def: $vgpr32
                                        ; implicit-def: $vgpr8
                                        ; implicit-def: $vgpr39
	s_and_saveexec_b32 s2, vcc_lo
	s_cbranch_execz .LBB0_5
; %bb.4:
	v_add_nc_u32_e32 v8, 0x700, v161
	v_add_nc_u32_e32 v9, 0x1600, v161
	ds_load_2addr_b64 v[32:35], v8 offset0:1 offset1:241
	ds_load_2addr_b64 v[8:11], v9 offset0:1 offset1:241
	ds_load_b64 v[39:40], v161 offset:9480
.LBB0_5:
	s_wait_alu 0xfffe
	s_or_b32 exec_lo, exec_lo, s2
	s_wait_dscnt 0x4
	v_dual_add_f32 v38, v24, v14 :: v_dual_sub_f32 v45, v6, v24
	s_wait_dscnt 0x3
	v_dual_add_f32 v42, v0, v6 :: v_dual_add_f32 v47, v6, v28
	s_load_b64 s[2:3], s[0:1], 0x8
	v_add_co_u32 v75, s0, 0x4b, v162
	v_fma_f32 v41, -0.5, v38, v0
	s_wait_alu 0xf1ff
	v_add_co_ci_u32_e64 v38, null, 0, 0, s0
	v_add_f32_e32 v38, v42, v24
	v_sub_f32_e32 v42, v25, v15
	v_sub_f32_e32 v44, v7, v29
	v_dual_sub_f32 v46, v28, v14 :: v_dual_add_f32 v49, v25, v15
	v_fma_f32 v0, -0.5, v47, v0
	v_sub_f32_e32 v47, v14, v28
	s_delay_alu instid0(VALU_DEP_4) | instskip(NEXT) | instid1(VALU_DEP_4)
	v_dual_fmamk_f32 v43, v44, 0x3f737871, v41 :: v_dual_add_f32 v38, v38, v14
	v_add_f32_e32 v46, v45, v46
	v_add_co_u32 v76, s0, 0x96, v162
	s_wait_alu 0xf1ff
	v_add_co_ci_u32_e64 v48, null, 0, 0, s0
	v_add_f32_e32 v45, v38, v28
	v_fmac_f32_e32 v43, 0x3f167918, v42
	v_dual_fmac_f32 v41, 0xbf737871, v44 :: v_dual_sub_f32 v38, v24, v6
	v_add_f32_e32 v48, v1, v7
	v_fmamk_f32 v50, v42, 0xbf737871, v0
	s_delay_alu instid0(VALU_DEP_4) | instskip(NEXT) | instid1(VALU_DEP_4)
	v_fmac_f32_e32 v43, 0x3e9e377a, v46
	v_dual_fmac_f32 v41, 0xbf167918, v42 :: v_dual_add_f32 v38, v38, v47
	s_delay_alu instid0(VALU_DEP_4) | instskip(SKIP_1) | instid1(VALU_DEP_3)
	v_dual_sub_f32 v28, v6, v28 :: v_dual_add_f32 v47, v48, v25
	v_sub_f32_e32 v14, v24, v14
	v_dual_fmac_f32 v41, 0x3e9e377a, v46 :: v_dual_add_f32 v46, v7, v29
	v_fmac_f32_e32 v0, 0x3f737871, v42
	v_fma_f32 v42, -0.5, v49, v1
	v_fmac_f32_e32 v50, 0x3f167918, v44
	s_wait_dscnt 0x1
	v_add_f32_e32 v48, v27, v21
	v_fma_f32 v1, -0.5, v46, v1
	v_sub_f32_e32 v24, v7, v25
	v_add_co_u32 v74, null, 0xe1, v162
	global_wb scope:SCOPE_SE
	s_wait_dscnt 0x0
	v_dual_fmamk_f32 v51, v14, 0x3f737871, v1 :: v_dual_add_f32 v6, v47, v15
	v_sub_f32_e32 v47, v29, v15
	v_mul_u32_u24_e32 v171, 5, v74
	s_wait_kmcnt 0x0
	s_barrier_signal -1
	v_dual_fmac_f32 v51, 0xbf167918, v28 :: v_dual_add_f32 v46, v6, v29
	v_dual_sub_f32 v6, v25, v7 :: v_dual_sub_f32 v7, v15, v29
	v_fmac_f32_e32 v0, 0xbf167918, v44
	v_dual_fmac_f32 v50, 0x3e9e377a, v38 :: v_dual_add_f32 v15, v26, v20
	v_dual_fmamk_f32 v44, v28, 0xbf737871, v42 :: v_dual_add_f32 v25, v2, v16
	s_delay_alu instid0(VALU_DEP_4) | instskip(NEXT) | instid1(VALU_DEP_4)
	v_dual_add_f32 v7, v6, v7 :: v_dual_fmac_f32 v42, 0x3f737871, v28
	v_fmac_f32_e32 v0, 0x3e9e377a, v38
	s_delay_alu instid0(VALU_DEP_4) | instskip(SKIP_1) | instid1(VALU_DEP_4)
	v_fma_f32 v6, -0.5, v15, v2
	v_sub_f32_e32 v29, v16, v26
	v_fmac_f32_e32 v51, 0x3e9e377a, v7
	v_dual_fmac_f32 v1, 0xbf737871, v14 :: v_dual_add_f32 v24, v24, v47
	v_add_f32_e32 v47, v16, v30
	v_fmac_f32_e32 v44, 0xbf167918, v14
	v_sub_f32_e32 v38, v30, v20
	s_delay_alu instid0(VALU_DEP_4)
	v_fmac_f32_e32 v1, 0x3f167918, v28
	v_sub_f32_e32 v15, v17, v31
	v_fma_f32 v2, -0.5, v47, v2
	v_dual_add_f32 v47, v3, v17 :: v_dual_fmac_f32 v42, 0x3f167918, v14
	v_add_f32_e32 v29, v29, v38
	v_fmac_f32_e32 v1, 0x3e9e377a, v7
	v_sub_f32_e32 v7, v26, v16
	v_fmac_f32_e32 v44, 0x3e9e377a, v24
	v_fmac_f32_e32 v42, 0x3e9e377a, v24
	v_sub_f32_e32 v38, v20, v30
	v_fmamk_f32 v14, v15, 0x3f737871, v6
	v_fmac_f32_e32 v6, 0xbf737871, v15
	s_barrier_wait -1
	global_inv scope:SCOPE_SE
	v_add_f32_e32 v38, v7, v38
	v_fma_f32 v7, -0.5, v48, v3
	v_dual_add_f32 v24, v25, v26 :: v_dual_sub_f32 v25, v27, v21
	s_delay_alu instid0(VALU_DEP_1) | instskip(NEXT) | instid1(VALU_DEP_2)
	v_add_f32_e32 v24, v24, v20
	v_fmac_f32_e32 v14, 0x3f167918, v25
	v_fmamk_f32 v28, v25, 0xbf737871, v2
	v_fmac_f32_e32 v2, 0x3f737871, v25
	v_sub_f32_e32 v20, v26, v20
	v_add_f32_e32 v24, v24, v30
	v_sub_f32_e32 v30, v16, v30
	v_dual_fmac_f32 v6, 0xbf167918, v25 :: v_dual_add_f32 v25, v47, v27
	v_dual_fmac_f32 v2, 0xbf167918, v15 :: v_dual_add_f32 v47, v18, v36
	s_delay_alu instid0(VALU_DEP_2) | instskip(NEXT) | instid1(VALU_DEP_3)
	v_fmac_f32_e32 v6, 0x3e9e377a, v29
	v_add_f32_e32 v16, v25, v21
	v_add_f32_e32 v25, v17, v31
	s_delay_alu instid0(VALU_DEP_1) | instskip(NEXT) | instid1(VALU_DEP_3)
	v_dual_fmac_f32 v3, -0.5, v25 :: v_dual_sub_f32 v26, v17, v27
	v_dual_add_f32 v25, v16, v31 :: v_dual_fmac_f32 v14, 0x3e9e377a, v29
	v_sub_f32_e32 v29, v31, v21
	v_dual_sub_f32 v16, v27, v17 :: v_dual_sub_f32 v17, v21, v31
	v_add_f32_e32 v21, v12, v22
	v_sub_f32_e32 v31, v18, v12
	s_delay_alu instid0(VALU_DEP_4) | instskip(NEXT) | instid1(VALU_DEP_4)
	v_dual_add_f32 v26, v26, v29 :: v_dual_fmamk_f32 v29, v20, 0x3f737871, v3
	v_dual_add_f32 v17, v16, v17 :: v_dual_fmac_f32 v28, 0x3f167918, v15
	v_add_f32_e32 v27, v4, v18
	v_fma_f32 v16, -0.5, v21, v4
	v_sub_f32_e32 v21, v19, v37
	v_fmamk_f32 v15, v30, 0xbf737871, v7
	v_fmac_f32_e32 v7, 0x3f737871, v30
	v_fmac_f32_e32 v3, 0xbf737871, v20
	v_fmac_f32_e32 v2, 0x3e9e377a, v38
	v_fmac_f32_e32 v29, 0xbf167918, v30
	v_fmac_f32_e32 v28, 0x3e9e377a, v38
	v_sub_f32_e32 v38, v36, v22
	v_fmac_f32_e32 v3, 0x3f167918, v30
	v_fmac_f32_e32 v15, 0xbf167918, v20
	;; [unrolled: 1-line block ×4, first 2 shown]
	v_fma_f32 v4, -0.5, v47, v4
	v_add_f32_e32 v47, v5, v19
	v_add_f32_e32 v31, v31, v38
	v_fmac_f32_e32 v15, 0x3e9e377a, v26
	v_dual_fmac_f32 v7, 0x3e9e377a, v26 :: v_dual_add_f32 v26, v27, v12
	v_fmac_f32_e32 v3, 0x3e9e377a, v17
	v_sub_f32_e32 v27, v13, v23
	v_dual_sub_f32 v17, v12, v18 :: v_dual_sub_f32 v18, v18, v36
	v_sub_f32_e32 v38, v22, v36
	v_sub_f32_e32 v12, v12, v22
	v_add_f32_e32 v48, v13, v23
	v_fmamk_f32 v20, v21, 0x3f737871, v16
	v_fmamk_f32 v30, v27, 0xbf737871, v4
	v_add_f32_e32 v38, v17, v38
	v_fmac_f32_e32 v4, 0x3f737871, v27
	v_fma_f32 v17, -0.5, v48, v5
	v_fmac_f32_e32 v16, 0xbf737871, v21
	v_fmac_f32_e32 v20, 0x3f167918, v27
	;; [unrolled: 1-line block ×4, first 2 shown]
	v_fmamk_f32 v21, v18, 0xbf737871, v17
	v_dual_fmac_f32 v16, 0xbf167918, v27 :: v_dual_add_f32 v27, v47, v13
	s_delay_alu instid0(VALU_DEP_2) | instskip(NEXT) | instid1(VALU_DEP_2)
	v_dual_add_f32 v26, v26, v22 :: v_dual_fmac_f32 v21, 0xbf167918, v12
	v_fmac_f32_e32 v16, 0x3e9e377a, v31
	s_delay_alu instid0(VALU_DEP_3) | instskip(SKIP_1) | instid1(VALU_DEP_4)
	v_add_f32_e32 v27, v27, v23
	v_dual_fmac_f32 v20, 0x3e9e377a, v31 :: v_dual_add_f32 v31, v19, v37
	v_add_f32_e32 v26, v26, v36
	s_delay_alu instid0(VALU_DEP_3) | instskip(NEXT) | instid1(VALU_DEP_3)
	v_dual_sub_f32 v36, v37, v23 :: v_dual_add_f32 v27, v27, v37
	v_dual_fmac_f32 v5, -0.5, v31 :: v_dual_sub_f32 v22, v19, v13
	v_sub_f32_e32 v13, v13, v19
	v_sub_f32_e32 v19, v23, v37
	v_add_f32_e32 v23, v8, v10
	s_delay_alu instid0(VALU_DEP_4) | instskip(SKIP_1) | instid1(VALU_DEP_4)
	v_dual_fmamk_f32 v31, v12, 0x3f737871, v5 :: v_dual_add_f32 v22, v22, v36
	v_add_f32_e32 v36, v34, v39
	v_add_f32_e32 v13, v13, v19
	s_delay_alu instid0(VALU_DEP_4)
	v_fma_f32 v72, -0.5, v23, v32
	v_sub_f32_e32 v19, v35, v40
	v_fmac_f32_e32 v21, 0x3e9e377a, v22
	v_fmac_f32_e32 v17, 0x3f737871, v18
	;; [unrolled: 1-line block ×3, first 2 shown]
	v_sub_f32_e32 v23, v39, v10
	s_delay_alu instid0(VALU_DEP_3) | instskip(NEXT) | instid1(VALU_DEP_3)
	v_fmac_f32_e32 v17, 0x3f167918, v12
	v_dual_fmac_f32 v30, 0x3e9e377a, v38 :: v_dual_fmac_f32 v31, 0x3e9e377a, v13
	v_dual_fmac_f32 v5, 0xbf737871, v12 :: v_dual_add_f32 v12, v32, v34
	s_delay_alu instid0(VALU_DEP_1) | instskip(SKIP_3) | instid1(VALU_DEP_4)
	v_dual_fmac_f32 v32, -0.5, v36 :: v_dual_fmac_f32 v5, 0x3f167918, v18
	v_fmac_f32_e32 v4, 0x3e9e377a, v38
	v_fmac_f32_e32 v17, 0x3e9e377a, v22
	v_fmamk_f32 v38, v19, 0x3f737871, v72
	v_dual_sub_f32 v18, v9, v11 :: v_dual_fmac_f32 v5, 0x3e9e377a, v13
	v_dual_add_f32 v13, v9, v11 :: v_dual_add_f32 v12, v12, v8
	s_delay_alu instid0(VALU_DEP_2) | instskip(SKIP_1) | instid1(VALU_DEP_3)
	v_fmamk_f32 v48, v18, 0xbf737871, v32
	v_fmac_f32_e32 v32, 0x3f737871, v18
	v_fma_f32 v73, -0.5, v13, v33
	s_delay_alu instid0(VALU_DEP_4) | instskip(SKIP_3) | instid1(VALU_DEP_4)
	v_dual_add_f32 v12, v12, v10 :: v_dual_sub_f32 v13, v34, v39
	v_sub_f32_e32 v22, v34, v8
	v_fmac_f32_e32 v48, 0x3f167918, v19
	v_fmac_f32_e32 v32, 0xbf167918, v19
	v_add_f32_e32 v36, v12, v39
	s_delay_alu instid0(VALU_DEP_4) | instskip(SKIP_3) | instid1(VALU_DEP_1)
	v_add_f32_e32 v22, v22, v23
	v_sub_f32_e32 v23, v10, v39
	v_fmamk_f32 v39, v13, 0xbf737871, v73
	v_dual_fmac_f32 v73, 0x3f737871, v13 :: v_dual_add_f32 v12, v33, v35
	v_add_f32_e32 v12, v12, v9
	s_delay_alu instid0(VALU_DEP_1) | instskip(SKIP_1) | instid1(VALU_DEP_2)
	v_add_f32_e32 v12, v12, v11
	v_dual_fmac_f32 v72, 0xbf737871, v19 :: v_dual_add_f32 v19, v35, v40
	v_dual_fmac_f32 v38, 0x3f167918, v18 :: v_dual_add_f32 v37, v12, v40
	s_delay_alu instid0(VALU_DEP_2) | instskip(NEXT) | instid1(VALU_DEP_2)
	v_dual_fmac_f32 v72, 0xbf167918, v18 :: v_dual_fmac_f32 v33, -0.5, v19
	v_fmac_f32_e32 v38, 0x3e9e377a, v22
	v_dual_sub_f32 v12, v40, v11 :: v_dual_sub_f32 v11, v11, v40
	s_delay_alu instid0(VALU_DEP_3) | instskip(SKIP_3) | instid1(VALU_DEP_2)
	v_fmac_f32_e32 v72, 0x3e9e377a, v22
	v_sub_f32_e32 v22, v8, v34
	v_sub_f32_e32 v8, v8, v10
	v_dual_sub_f32 v10, v35, v9 :: v_dual_sub_f32 v9, v9, v35
	v_fmac_f32_e32 v39, 0xbf167918, v8
	v_fmamk_f32 v49, v8, 0x3f737871, v33
	v_fmac_f32_e32 v33, 0xbf737871, v8
	s_delay_alu instid0(VALU_DEP_4) | instskip(SKIP_1) | instid1(VALU_DEP_4)
	v_dual_fmac_f32 v73, 0x3f167918, v8 :: v_dual_add_f32 v8, v9, v11
	v_mul_lo_u16 v9, v162, 5
	v_fmac_f32_e32 v49, 0xbf167918, v13
	s_delay_alu instid0(VALU_DEP_4) | instskip(NEXT) | instid1(VALU_DEP_3)
	v_dual_fmac_f32 v33, 0x3f167918, v13 :: v_dual_add_f32 v10, v10, v12
	v_dual_add_f32 v18, v22, v23 :: v_dual_and_b32 v9, 0xffff, v9
	s_delay_alu instid0(VALU_DEP_3) | instskip(NEXT) | instid1(VALU_DEP_3)
	v_fmac_f32_e32 v49, 0x3e9e377a, v8
	v_fmac_f32_e32 v33, 0x3e9e377a, v8
	s_delay_alu instid0(VALU_DEP_4)
	v_fmac_f32_e32 v73, 0x3e9e377a, v10
	v_mul_u32_u24_e32 v8, 5, v75
	v_lshl_add_u32 v170, v9, 3, v163
	v_mul_u32_u24_e32 v9, 5, v76
	v_fmac_f32_e32 v48, 0x3e9e377a, v18
	v_fmac_f32_e32 v32, 0x3e9e377a, v18
	;; [unrolled: 1-line block ×3, first 2 shown]
	v_lshl_add_u32 v169, v8, 3, v163
	v_lshl_add_u32 v168, v9, 3, v163
	ds_store_2addr_b64 v170, v[45:46], v[43:44] offset1:1
	ds_store_2addr_b64 v170, v[50:51], v[0:1] offset0:2 offset1:3
	ds_store_b64 v170, v[41:42] offset:32
	ds_store_2addr_b64 v169, v[24:25], v[14:15] offset1:1
	ds_store_2addr_b64 v169, v[28:29], v[2:3] offset0:2 offset1:3
	ds_store_b64 v169, v[6:7] offset:32
	;; [unrolled: 3-line block ×3, first 2 shown]
	s_and_saveexec_b32 s0, vcc_lo
	s_cbranch_execz .LBB0_7
; %bb.6:
	v_lshl_add_u32 v2, v171, 3, v163
	v_dual_mov_b32 v0, v32 :: v_dual_mov_b32 v1, v33
	ds_store_2addr_b64 v2, v[36:37], v[38:39] offset1:1
	ds_store_2addr_b64 v2, v[48:49], v[0:1] offset0:2 offset1:3
	ds_store_b64 v2, v[72:73] offset:32
.LBB0_7:
	s_wait_alu 0xfffe
	s_or_b32 exec_lo, exec_lo, s0
	v_add_nc_u32_e32 v0, 0xc00, v161
	v_add_nc_u32_e32 v1, 0x1000, v161
	;; [unrolled: 1-line block ×5, first 2 shown]
	global_wb scope:SCOPE_SE
	s_wait_dscnt 0x0
	s_barrier_signal -1
	s_barrier_wait -1
	global_inv scope:SCOPE_SE
	ds_load_2addr_b64 v[44:47], v161 offset1:75
	ds_load_2addr_b64 v[40:43], v161 offset0:150 offset1:240
	ds_load_2addr_b64 v[68:71], v0 offset0:96 offset1:171
	;; [unrolled: 1-line block ×6, first 2 shown]
	ds_load_b64 v[34:35], v161 offset:8880
	s_and_saveexec_b32 s0, vcc_lo
	s_cbranch_execz .LBB0_9
; %bb.8:
	v_add_nc_u32_e32 v0, 0x1600, v161
	ds_load_2addr_b64 v[48:51], v0 offset0:1 offset1:241
	v_add_nc_u32_e32 v0, 0x700, v161
	ds_load_b64 v[72:73], v161 offset:9480
	ds_load_2addr_b64 v[36:39], v0 offset0:1 offset1:241
	s_wait_dscnt 0x2
	v_dual_mov_b32 v33, v51 :: v_dual_mov_b32 v32, v50
.LBB0_9:
	s_wait_alu 0xfffe
	s_or_b32 exec_lo, exec_lo, s0
	v_and_b32_e32 v50, 0xff, v162
	v_and_b32_e32 v1, 0xff, v75
	;; [unrolled: 1-line block ×3, first 2 shown]
	s_delay_alu instid0(VALU_DEP_3) | instskip(NEXT) | instid1(VALU_DEP_1)
	v_mul_lo_u16 v0, 0xcd, v50
	v_lshrrev_b16 v78, 10, v0
	s_delay_alu instid0(VALU_DEP_4) | instskip(NEXT) | instid1(VALU_DEP_2)
	v_mul_lo_u16 v0, 0xcd, v1
	v_mul_lo_u16 v1, v78, 5
	s_delay_alu instid0(VALU_DEP_2) | instskip(NEXT) | instid1(VALU_DEP_2)
	v_lshrrev_b16 v79, 10, v0
	v_sub_nc_u16 v0, v162, v1
	v_mul_lo_u16 v1, 0xcd, v2
	s_delay_alu instid0(VALU_DEP_3) | instskip(NEXT) | instid1(VALU_DEP_3)
	v_mul_lo_u16 v2, v79, 5
	v_and_b32_e32 v80, 0xff, v0
	s_delay_alu instid0(VALU_DEP_3) | instskip(NEXT) | instid1(VALU_DEP_3)
	v_lshrrev_b16 v81, 10, v1
	v_sub_nc_u16 v0, v75, v2
	s_delay_alu instid0(VALU_DEP_3) | instskip(NEXT) | instid1(VALU_DEP_3)
	v_lshlrev_b32_e32 v1, 5, v80
	v_mul_lo_u16 v2, v81, 5
	s_clause 0x1
	global_load_b128 v[24:27], v1, s[2:3]
	global_load_b128 v[20:23], v1, s[2:3] offset:16
	v_and_b32_e32 v82, 0xff, v0
	v_sub_nc_u16 v0, v76, v2
	v_and_b32_e32 v81, 0xffff, v81
	s_delay_alu instid0(VALU_DEP_2) | instskip(SKIP_4) | instid1(VALU_DEP_3)
	v_and_b32_e32 v83, 0xff, v0
	s_wait_loadcnt_dscnt 0x3
	v_dual_mul_f32 v85, v64, v23 :: v_dual_lshlrev_b32 v2, 5, v82
	v_mul_f32_e32 v84, v65, v23
	v_mul_u32_u24_e32 v81, 25, v81
	v_fmac_f32_e32 v85, v65, v22
	s_clause 0x1
	global_load_b128 v[28:31], v2, s[2:3]
	global_load_b128 v[16:19], v2, s[2:3] offset:16
	v_and_b32_e32 v0, 0xffff, v74
	v_and_b32_e32 v79, 0xffff, v79
	s_wait_loadcnt_dscnt 0x1
	v_dual_mul_f32 v89, v70, v31 :: v_dual_mul_f32 v90, v57, v17
	s_delay_alu instid0(VALU_DEP_3) | instskip(NEXT) | instid1(VALU_DEP_3)
	v_mul_u32_u24_e32 v0, 0xcccd, v0
	v_mul_u32_u24_e32 v79, 25, v79
	v_mul_f32_e32 v86, v61, v29
	v_dual_mul_f32 v87, v60, v29 :: v_dual_mul_f32 v92, v67, v19
	s_delay_alu instid0(VALU_DEP_4) | instskip(NEXT) | instid1(VALU_DEP_4)
	v_lshrrev_b32_e32 v51, 18, v0
	v_add_nc_u32_e32 v79, v79, v82
	v_dual_mul_f32 v82, v55, v21 :: v_dual_lshlrev_b32 v1, 5, v83
	v_mul_f32_e32 v91, v56, v17
	s_delay_alu instid0(VALU_DEP_4)
	v_mul_lo_u16 v0, v51, 5
	v_mul_f32_e32 v93, v66, v19
	v_fmac_f32_e32 v87, v61, v28
	s_clause 0x1
	global_load_b128 v[12:15], v1, s[2:3]
	global_load_b128 v[4:7], v1, s[2:3] offset:16
	v_sub_nc_u16 v77, v74, v0
	v_and_b32_e32 v78, 0xffff, v78
	v_fma_f32 v61, v56, v16, -v90
	v_fmac_f32_e32 v91, v57, v16
	s_delay_alu instid0(VALU_DEP_4) | instskip(NEXT) | instid1(VALU_DEP_1)
	v_lshlrev_b16 v0, 2, v77
	v_and_b32_e32 v0, 0xffff, v0
	s_delay_alu instid0(VALU_DEP_1)
	v_lshlrev_b32_e32 v0, 3, v0
	s_clause 0x1
	global_load_b128 v[8:11], v0, s[2:3]
	global_load_b128 v[0:3], v0, s[2:3] offset:16
	v_fmac_f32_e32 v89, v71, v30
	global_wb scope:SCOPE_SE
	s_wait_loadcnt_dscnt 0x0
	s_barrier_signal -1
	s_barrier_wait -1
	global_inv scope:SCOPE_SE
	v_mul_f32_e32 v95, v62, v13
	v_mul_u32_u24_e32 v78, 25, v78
	v_dual_mul_f32 v94, v63, v13 :: v_dual_mul_f32 v101, v34, v7
	v_mul_f32_e32 v96, v53, v15
	v_lshl_add_u32 v166, v79, 3, v163
	s_delay_alu instid0(VALU_DEP_4) | instskip(SKIP_2) | instid1(VALU_DEP_3)
	v_dual_mul_f32 v97, v52, v15 :: v_dual_add_nc_u32 v78, v78, v80
	v_dual_mul_f32 v99, v58, v5 :: v_dual_add_nc_u32 v80, v81, v83
	v_mul_f32_e32 v79, v42, v25
	v_lshl_add_u32 v167, v78, 3, v163
	v_mul_f32_e32 v78, v43, v25
	s_delay_alu instid0(VALU_DEP_4)
	v_lshl_add_u32 v165, v80, 3, v163
	v_mul_f32_e32 v80, v69, v27
	v_mul_f32_e32 v81, v68, v27
	v_dual_mul_f32 v83, v54, v21 :: v_dual_mul_f32 v88, v71, v31
	v_mul_f32_e32 v98, v59, v5
	v_mul_f32_e32 v100, v35, v7
	v_fma_f32 v78, v42, v24, -v78
	v_dual_fmac_f32 v79, v43, v24 :: v_dual_mul_f32 v42, v48, v11
	v_fma_f32 v68, v68, v26, -v80
	v_fmac_f32_e32 v81, v69, v26
	v_fma_f32 v69, v54, v20, -v82
	v_fmac_f32_e32 v83, v55, v20
	v_fma_f32 v80, v64, v22, -v84
	v_fma_f32 v54, v60, v28, -v86
	;; [unrolled: 1-line block ×4, first 2 shown]
	v_fmac_f32_e32 v93, v67, v18
	v_fma_f32 v56, v62, v12, -v94
	v_fma_f32 v57, v52, v14, -v96
	v_dual_fmac_f32 v97, v53, v14 :: v_dual_mul_f32 v52, v39, v9
	v_fma_f32 v65, v58, v4, -v98
	v_fma_f32 v82, v34, v6, -v100
	v_dual_mul_f32 v43, v38, v9 :: v_dual_sub_f32 v60, v69, v80
	v_dual_mul_f32 v53, v49, v11 :: v_dual_sub_f32 v70, v79, v85
	v_dual_mul_f32 v58, v33, v1 :: v_dual_fmac_f32 v101, v35, v6
	v_mul_f32_e32 v35, v32, v1
	v_dual_mul_f32 v34, v72, v3 :: v_dual_fmac_f32 v99, v59, v4
	v_mul_f32_e32 v59, v73, v3
	v_dual_fmac_f32 v95, v63, v12 :: v_dual_fmac_f32 v42, v49, v10
	v_fma_f32 v52, v38, v8, -v52
	v_dual_fmac_f32 v43, v39, v8 :: v_dual_add_f32 v62, v45, v79
	v_fma_f32 v39, v48, v10, -v53
	v_fma_f32 v38, v32, v0, -v58
	v_fma_f32 v32, v72, v2, -v59
	v_fmac_f32_e32 v34, v73, v2
	v_dual_add_f32 v48, v68, v69 :: v_dual_sub_f32 v49, v78, v68
	v_sub_f32_e32 v84, v83, v85
	v_dual_sub_f32 v53, v80, v69 :: v_dual_add_f32 v86, v46, v54
	v_add_f32_e32 v58, v78, v80
	v_dual_fmac_f32 v35, v33, v0 :: v_dual_sub_f32 v64, v79, v81
	v_dual_add_f32 v33, v44, v78 :: v_dual_sub_f32 v66, v85, v83
	v_dual_sub_f32 v59, v68, v78 :: v_dual_add_f32 v88, v55, v61
	v_dual_add_f32 v63, v81, v83 :: v_dual_sub_f32 v90, v87, v93
	v_dual_add_f32 v67, v79, v85 :: v_dual_sub_f32 v94, v54, v55
	v_dual_sub_f32 v79, v81, v79 :: v_dual_sub_f32 v96, v71, v61
	v_dual_add_f32 v98, v54, v71 :: v_dual_sub_f32 v107, v87, v89
	v_dual_sub_f32 v102, v61, v71 :: v_dual_add_f32 v109, v87, v93
	v_dual_add_f32 v103, v47, v87 :: v_dual_add_f32 v112, v57, v65
	v_dual_add_f32 v104, v89, v91 :: v_dual_add_f32 v111, v40, v56
	v_dual_sub_f32 v106, v55, v61 :: v_dual_sub_f32 v87, v89, v87
	v_dual_sub_f32 v110, v91, v93 :: v_dual_add_f32 v117, v56, v82
	v_dual_sub_f32 v114, v97, v99 :: v_dual_sub_f32 v115, v56, v57
	v_dual_sub_f32 v116, v82, v65 :: v_dual_sub_f32 v119, v65, v82
	;; [unrolled: 1-line block ×3, first 2 shown]
	v_sub_f32_e32 v92, v89, v91
	v_sub_f32_e32 v78, v68, v69
	v_dual_sub_f32 v100, v55, v54 :: v_dual_sub_f32 v105, v54, v71
	v_dual_sub_f32 v108, v93, v91 :: v_dual_sub_f32 v113, v95, v101
	v_dual_sub_f32 v118, v57, v56 :: v_dual_sub_f32 v157, v56, v82
	v_dual_add_f32 v120, v41, v95 :: v_dual_add_f32 v173, v59, v60
	v_dual_add_f32 v121, v97, v99 :: v_dual_sub_f32 v122, v95, v97
	v_sub_f32_e32 v158, v57, v65
	v_dual_sub_f32 v123, v101, v99 :: v_dual_add_f32 v160, v95, v101
	v_add_f32_e32 v33, v33, v68
	v_fma_f32 v48, -0.5, v48, v44
	v_add_f32_e32 v172, v49, v53
	v_fma_f32 v44, -0.5, v58, v44
	;; [unrolled: 2-line block ×4, first 2 shown]
	v_add_f32_e32 v84, v79, v84
	v_add_f32_e32 v62, v86, v55
	v_fma_f32 v53, -0.5, v88, v46
	v_dual_add_f32 v88, v94, v96 :: v_dual_add_f32 v79, v39, v38
	v_fma_f32 v46, -0.5, v98, v46
	v_fma_f32 v54, -0.5, v104, v47
	v_dual_fmac_f32 v47, -0.5, v109 :: v_dual_add_f32 v96, v87, v110
	v_dual_add_f32 v109, v42, v35 :: v_dual_add_f32 v66, v111, v57
	v_dual_sub_f32 v87, v32, v38 :: v_dual_add_f32 v98, v115, v116
	v_sub_f32_e32 v115, v34, v35
	v_dual_sub_f32 v86, v52, v39 :: v_dual_sub_f32 v111, v39, v38
	v_dual_add_f32 v104, v52, v32 :: v_dual_add_f32 v33, v33, v69
	v_dual_add_f32 v116, v43, v34 :: v_dual_sub_f32 v95, v97, v95
	v_sub_f32_e32 v164, v99, v101
	v_add_f32_e32 v94, v100, v102
	v_dual_add_f32 v64, v103, v89 :: v_dual_sub_f32 v103, v42, v35
	v_add_f32_e32 v89, v107, v108
	v_fma_f32 v55, -0.5, v112, v40
	v_fma_f32 v40, -0.5, v117, v40
	v_dual_add_f32 v100, v118, v119 :: v_dual_add_f32 v95, v95, v164
	v_dual_add_f32 v68, v120, v97 :: v_dual_sub_f32 v107, v39, v52
	v_fma_f32 v56, -0.5, v121, v41
	v_add_f32_e32 v97, v122, v123
	v_dual_fmac_f32 v41, -0.5, v160 :: v_dual_sub_f32 v102, v43, v34
	v_sub_f32_e32 v117, v42, v43
	v_dual_sub_f32 v108, v38, v32 :: v_dual_fmamk_f32 v59, v72, 0xbf737871, v44
	v_dual_sub_f32 v110, v52, v32 :: v_dual_fmamk_f32 v57, v70, 0x3f737871, v48
	v_dual_sub_f32 v112, v43, v42 :: v_dual_add_f32 v83, v58, v83
	v_dual_sub_f32 v118, v35, v34 :: v_dual_add_f32 v119, v62, v61
	v_dual_fmamk_f32 v58, v73, 0xbf737871, v49 :: v_dual_fmamk_f32 v63, v92, 0xbf737871, v46
	v_fmac_f32_e32 v49, 0x3f737871, v73
	v_dual_fmamk_f32 v60, v78, 0x3f737871, v45 :: v_dual_add_f32 v99, v68, v99
	v_dual_fmac_f32 v45, 0xbf737871, v78 :: v_dual_fmamk_f32 v62, v105, 0xbf737871, v54
	v_dual_fmac_f32 v54, 0x3f737871, v105 :: v_dual_add_f32 v121, v86, v87
	v_fma_f32 v122, -0.5, v79, v36
	v_fma_f32 v86, -0.5, v104, v36
	;; [unrolled: 1-line block ×4, first 2 shown]
	v_dual_fmac_f32 v48, 0xbf737871, v70 :: v_dual_add_f32 v91, v64, v91
	v_dual_fmac_f32 v44, 0x3f737871, v72 :: v_dual_fmamk_f32 v61, v90, 0x3f737871, v53
	v_dual_fmac_f32 v53, 0xbf737871, v90 :: v_dual_add_f32 v120, v66, v65
	v_dual_fmac_f32 v46, 0x3f737871, v92 :: v_dual_fmamk_f32 v65, v113, 0x3f737871, v55
	v_fmamk_f32 v64, v106, 0x3f737871, v47
	v_dual_fmac_f32 v47, 0xbf737871, v106 :: v_dual_fmamk_f32 v66, v157, 0xbf737871, v56
	v_dual_fmac_f32 v55, 0xbf737871, v113 :: v_dual_add_f32 v104, v107, v108
	v_dual_fmamk_f32 v67, v114, 0xbf737871, v40 :: v_dual_add_f32 v108, v117, v118
	v_dual_fmac_f32 v56, 0x3f737871, v157 :: v_dual_add_f32 v71, v119, v71
	v_dual_fmamk_f32 v68, v158, 0x3f737871, v41 :: v_dual_add_f32 v79, v99, v101
	v_fmac_f32_e32 v41, 0xbf737871, v158
	v_fmamk_f32 v116, v102, 0x3f737871, v122
	v_dual_fmac_f32 v122, 0xbf737871, v102 :: v_dual_fmamk_f32 v117, v110, 0xbf737871, v123
	v_fmamk_f32 v118, v103, 0xbf737871, v86
	v_dual_fmac_f32 v86, 0x3f737871, v103 :: v_dual_fmamk_f32 v119, v111, 0x3f737871, v87
	v_fmac_f32_e32 v123, 0x3f737871, v110
	v_fmac_f32_e32 v87, 0xbf737871, v111
	v_dual_fmac_f32 v40, 0x3f737871, v114 :: v_dual_add_f32 v69, v33, v80
	v_add_f32_e32 v107, v112, v115
	v_fmac_f32_e32 v57, 0x3f167918, v72
	v_dual_fmac_f32 v48, 0xbf167918, v72 :: v_dual_fmac_f32 v55, 0xbf167918, v114
	v_dual_fmac_f32 v59, 0x3f167918, v70 :: v_dual_fmac_f32 v116, 0x3f167918, v103
	;; [unrolled: 1-line block ×3, first 2 shown]
	v_add_f32_e32 v70, v83, v85
	v_dual_fmac_f32 v58, 0xbf167918, v78 :: v_dual_fmac_f32 v117, 0xbf167918, v111
	v_dual_fmac_f32 v60, 0xbf167918, v73 :: v_dual_fmac_f32 v119, 0xbf167918, v110
	;; [unrolled: 1-line block ×3, first 2 shown]
	v_fmac_f32_e32 v63, 0x3f167918, v90
	v_dual_fmac_f32 v67, 0x3f167918, v113 :: v_dual_fmac_f32 v118, 0x3f167918, v102
	v_fmac_f32_e32 v68, 0xbf167918, v157
	v_fmac_f32_e32 v41, 0x3f167918, v157
	;; [unrolled: 1-line block ×8, first 2 shown]
	v_dual_fmac_f32 v47, 0x3f167918, v105 :: v_dual_fmac_f32 v56, 0x3f167918, v158
	v_fmac_f32_e32 v65, 0x3f167918, v114
	v_fmac_f32_e32 v66, 0xbf167918, v158
	v_fmac_f32_e32 v40, 0xbf167918, v113
	v_dual_fmac_f32 v61, 0x3f167918, v92 :: v_dual_add_f32 v78, v120, v82
	v_fmac_f32_e32 v62, 0xbf167918, v106
	v_fmac_f32_e32 v46, 0xbf167918, v90
	v_dual_add_f32 v72, v91, v93 :: v_dual_fmac_f32 v57, 0x3e9e377a, v172
	v_fmac_f32_e32 v44, 0x3e9e377a, v173
	v_dual_fmac_f32 v48, 0x3e9e377a, v172 :: v_dual_fmac_f32 v59, 0x3e9e377a, v173
	v_dual_fmac_f32 v58, 0x3e9e377a, v81 :: v_dual_fmac_f32 v45, 0x3e9e377a, v84
	;; [unrolled: 1-line block ×8, first 2 shown]
	v_fmac_f32_e32 v86, 0x3e9e377a, v104
	v_fmac_f32_e32 v87, 0x3e9e377a, v108
	v_mad_u16 v173, v51, 25, v77
	v_dual_fmac_f32 v49, 0x3e9e377a, v81 :: v_dual_fmac_f32 v60, 0x3e9e377a, v84
	v_dual_fmac_f32 v64, 0x3e9e377a, v96 :: v_dual_fmac_f32 v65, 0x3e9e377a, v98
	;; [unrolled: 1-line block ×6, first 2 shown]
	ds_store_2addr_b64 v167, v[69:70], v[57:58] offset1:5
	ds_store_2addr_b64 v167, v[59:60], v[44:45] offset0:10 offset1:15
	ds_store_b64 v167, v[48:49] offset:160
	ds_store_2addr_b64 v166, v[71:72], v[61:62] offset1:5
	ds_store_2addr_b64 v166, v[63:64], v[46:47] offset0:10 offset1:15
	ds_store_b64 v166, v[53:54] offset:160
	;; [unrolled: 3-line block ×3, first 2 shown]
	s_and_saveexec_b32 s0, vcc_lo
	s_cbranch_execz .LBB0_11
; %bb.10:
	v_dual_add_f32 v33, v37, v43 :: v_dual_add_f32 v36, v36, v52
	s_delay_alu instid0(VALU_DEP_1) | instskip(NEXT) | instid1(VALU_DEP_1)
	v_dual_add_f32 v33, v33, v42 :: v_dual_add_f32 v36, v36, v39
	v_add_f32_e32 v33, v33, v35
	s_delay_alu instid0(VALU_DEP_2) | instskip(SKIP_1) | instid1(VALU_DEP_2)
	v_add_f32_e32 v35, v36, v38
	v_and_b32_e32 v37, 0xffff, v173
	v_dual_add_f32 v33, v33, v34 :: v_dual_add_f32 v32, v35, v32
	s_delay_alu instid0(VALU_DEP_2)
	v_lshl_add_u32 v36, v37, 3, v163
	ds_store_2addr_b64 v36, v[118:119], v[86:87] offset0:10 offset1:15
	ds_store_2addr_b64 v36, v[32:33], v[116:117] offset1:5
	ds_store_b64 v36, v[122:123] offset:160
.LBB0_11:
	s_wait_alu 0xfffe
	s_or_b32 exec_lo, exec_lo, s0
	v_mul_lo_u16 v32, v50, 41
	global_wb scope:SCOPE_SE
	s_wait_dscnt 0x0
	s_barrier_signal -1
	s_barrier_wait -1
	global_inv scope:SCOPE_SE
	v_lshrrev_b16 v50, 10, v32
	v_cmp_gt_u16_e64 s0, 25, v162
	s_delay_alu instid0(VALU_DEP_2) | instskip(NEXT) | instid1(VALU_DEP_1)
	v_mul_lo_u16 v32, v50, 25
	v_sub_nc_u16 v32, v162, v32
	s_delay_alu instid0(VALU_DEP_1) | instskip(NEXT) | instid1(VALU_DEP_1)
	v_and_b32_e32 v51, 0xff, v32
	v_mad_co_u64_u32 v[48:49], null, 0x78, v51, s[2:3]
	s_clause 0x7
	global_load_b128 v[60:63], v[48:49], off offset:160
	global_load_b128 v[52:55], v[48:49], off offset:176
	;; [unrolled: 1-line block ×7, first 2 shown]
	global_load_b64 v[157:158], v[48:49], off offset:272
	ds_load_2addr_b64 v[64:67], v161 offset1:75
	ds_load_2addr_b64 v[68:71], v161 offset0:150 offset1:225
	v_add_nc_u32_e32 v48, 0x800, v161
	v_add_nc_u32_e32 v104, 0xc00, v161
	v_and_b32_e32 v49, 0xffff, v50
	v_add_nc_u32_e32 v106, 0x1800, v161
	s_wait_loadcnt_dscnt 0x700
	v_dual_mul_f32 v73, v68, v63 :: v_dual_add_nc_u32 v72, 0x2000, v161
	ds_load_2addr_b64 v[77:80], v48 offset0:44 offset1:119
	ds_load_2addr_b64 v[81:84], v104 offset0:66 offset1:141
	v_add_nc_u32_e32 v105, 0x1000, v161
	v_add_nc_u32_e32 v50, 0x1400, v161
	;; [unrolled: 1-line block ×3, first 2 shown]
	s_wait_loadcnt_dscnt 0x601
	v_dual_fmac_f32 v73, v69, v62 :: v_dual_mul_f32 v110, v78, v55
	s_wait_loadcnt_dscnt 0x500
	v_mul_f32_e32 v114, v82, v43
	v_mul_f32_e32 v115, v81, v43
	ds_load_2addr_b64 v[88:91], v105 offset0:88 offset1:163
	ds_load_2addr_b64 v[92:95], v50 offset0:110 offset1:185
	;; [unrolled: 1-line block ×4, first 2 shown]
	v_mul_f32_e32 v72, v69, v63
	v_mul_u32_u24_e32 v49, 0x190, v49
	v_mul_f32_e32 v50, v66, v61
	v_mul_f32_e32 v112, v80, v41
	v_mul_f32_e32 v85, v71, v53
	v_mul_f32_e32 v111, v77, v55
	v_add_nc_u32_e32 v49, v49, v51
	v_mul_f32_e32 v113, v79, v41
	s_wait_loadcnt 0x4
	v_mul_f32_e32 v121, v83, v33
	v_dual_mul_f32 v109, v70, v53 :: v_dual_fmac_f32 v50, v67, v60
	v_lshl_add_u32 v172, v49, 3, v163
	v_mul_f32_e32 v49, v67, v61
	v_mul_f32_e32 v120, v84, v33
	v_fma_f32 v69, v79, v40, -v112
	global_wb scope:SCOPE_SE
	s_wait_loadcnt_dscnt 0x0
	v_mul_f32_e32 v164, v88, v35
	v_add_nc_u32_e32 v108, 0x800, v172
	v_mul_f32_e32 v160, v89, v35
	v_mul_f32_e32 v176, v93, v59
	v_dual_mul_f32 v180, v97, v47 :: v_dual_mul_f32 v175, v90, v57
	v_mul_f32_e32 v184, v101, v39
	v_mul_f32_e32 v177, v92, v59
	v_fma_f32 v49, v66, v60, -v49
	v_fma_f32 v66, v68, v62, -v72
	;; [unrolled: 1-line block ×4, first 2 shown]
	v_fmac_f32_e32 v111, v78, v54
	v_fma_f32 v78, v92, v58, -v176
	v_fmac_f32_e32 v113, v80, v40
	v_fma_f32 v80, v96, v46, -v180
	v_dual_mul_f32 v174, v91, v57 :: v_dual_mul_f32 v185, v100, v39
	v_mul_f32_e32 v181, v96, v47
	v_mul_f32_e32 v183, v98, v37
	v_fma_f32 v67, v70, v52, -v85
	v_dual_fmac_f32 v109, v71, v52 :: v_dual_fmac_f32 v164, v89, v34
	v_fma_f32 v70, v81, v42, -v114
	v_fmac_f32_e32 v115, v82, v42
	v_dual_fmac_f32 v177, v93, v58 :: v_dual_sub_f32 v80, v68, v80
	v_fma_f32 v82, v100, v38, -v184
	v_sub_f32_e32 v72, v64, v72
	v_dual_mul_f32 v182, v99, v37 :: v_dual_add_nc_u32 v51, 0x400, v172
	s_delay_alu instid0(VALU_DEP_4) | instskip(NEXT) | instid1(VALU_DEP_4)
	v_dual_fmac_f32 v121, v84, v32 :: v_dual_sub_f32 v88, v73, v177
	v_dual_fmac_f32 v175, v91, v56 :: v_dual_sub_f32 v82, v70, v82
	v_sub_f32_e32 v84, v65, v164
	v_fmac_f32_e32 v181, v97, v46
	v_sub_f32_e32 v78, v66, v78
	v_fma_f32 v64, v64, 2.0, -v72
	v_fma_f32 v68, v68, 2.0, -v80
	v_dual_add_f32 v80, v84, v80 :: v_dual_fmac_f32 v185, v101, v38
	v_dual_mul_f32 v178, v95, v45 :: v_dual_mul_f32 v187, v102, v158
	v_dual_mul_f32 v179, v94, v45 :: v_dual_mul_f32 v186, v103, v158
	v_fma_f32 v65, v65, 2.0, -v84
	v_sub_f32_e32 v85, v111, v181
	v_fma_f32 v66, v66, 2.0, -v78
	v_fma_f32 v70, v70, 2.0, -v82
	v_dual_sub_f32 v68, v64, v68 :: v_dual_sub_f32 v89, v115, v185
	v_fma_f32 v71, v83, v32, -v120
	v_fma_f32 v79, v94, v44, -v178
	s_delay_alu instid0(VALU_DEP_4)
	v_dual_sub_f32 v70, v66, v70 :: v_dual_fmac_f32 v179, v95, v44
	v_fma_f32 v81, v98, v36, -v182
	v_fma_f32 v83, v102, v157, -v186
	v_dual_fmac_f32 v187, v103, v157 :: v_dual_add_f32 v82, v88, v82
	v_fma_f32 v94, v111, 2.0, -v85
	v_fma_f32 v73, v73, 2.0, -v88
	;; [unrolled: 1-line block ×3, first 2 shown]
	v_fma_f32 v77, v90, v56, -v174
	v_dual_sub_f32 v90, v50, v175 :: v_dual_fmac_f32 v183, v99, v36
	v_dual_sub_f32 v92, v109, v179 :: v_dual_sub_f32 v89, v78, v89
	v_dual_sub_f32 v94, v65, v94 :: v_dual_sub_f32 v85, v72, v85
	v_fma_f32 v99, v84, 2.0, -v80
	v_sub_f32_e32 v84, v73, v95
	v_sub_f32_e32 v83, v71, v83
	v_fma_f32 v88, v88, 2.0, -v82
	v_sub_f32_e32 v81, v69, v81
	v_dual_sub_f32 v93, v121, v187 :: v_dual_add_f32 v112, v94, v70
	s_delay_alu instid0(VALU_DEP_4)
	v_fma_f32 v71, v71, 2.0, -v83
	v_add_f32_e32 v83, v92, v83
	v_fmamk_f32 v110, v88, 0xbf3504f3, v99
	v_fma_f32 v69, v69, 2.0, -v81
	v_add_f32_e32 v81, v90, v81
	v_sub_f32_e32 v91, v113, v183
	v_dual_sub_f32 v77, v49, v77 :: v_dual_fmamk_f32 v100, v82, 0x3f3504f3, v80
	v_fma_f32 v50, v50, 2.0, -v90
	v_fma_f32 v97, v109, 2.0, -v92
	;; [unrolled: 1-line block ×3, first 2 shown]
	v_sub_f32_e32 v79, v67, v79
	v_fmamk_f32 v102, v83, 0x3f3504f3, v81
	v_fma_f32 v96, v113, 2.0, -v91
	v_fma_f32 v49, v49, 2.0, -v77
	;; [unrolled: 1-line block ×3, first 2 shown]
	v_sub_f32_e32 v111, v68, v84
	v_fma_f32 v72, v72, 2.0, -v85
	v_dual_sub_f32 v95, v50, v96 :: v_dual_sub_f32 v96, v97, v98
	v_fma_f32 v67, v67, 2.0, -v79
	v_fmamk_f32 v98, v89, 0x3f3504f3, v85
	v_fma_f32 v64, v64, 2.0, -v68
	v_fma_f32 v114, v68, 2.0, -v111
	;; [unrolled: 1-line block ×3, first 2 shown]
	s_delay_alu instid0(VALU_DEP_4) | instskip(SKIP_4) | instid1(VALU_DEP_4)
	v_dual_sub_f32 v71, v67, v71 :: v_dual_fmac_f32 v98, 0xbf3504f3, v82
	v_fma_f32 v78, v78, 2.0, -v89
	v_sub_f32_e32 v69, v49, v69
	v_dual_sub_f32 v91, v77, v91 :: v_dual_fmac_f32 v100, 0x3f3504f3, v89
	v_fma_f32 v73, v73, 2.0, -v84
	v_dual_fmac_f32 v110, 0x3f3504f3, v78 :: v_dual_sub_f32 v93, v79, v93
	s_delay_alu instid0(VALU_DEP_4)
	v_fma_f32 v103, v49, 2.0, -v69
	v_fma_f32 v49, v67, 2.0, -v71
	;; [unrolled: 1-line block ×6, first 2 shown]
	v_sub_f32_e32 v70, v103, v49
	v_fma_f32 v109, v50, 2.0, -v95
	v_fma_f32 v50, v97, 2.0, -v96
	v_sub_f32_e32 v96, v69, v96
	v_fma_f32 v79, v79, 2.0, -v93
	v_fmac_f32_e32 v102, 0x3f3504f3, v93
	v_fma_f32 v92, v92, 2.0, -v83
	v_sub_f32_e32 v68, v109, v50
	v_fmamk_f32 v101, v93, 0x3f3504f3, v91
	v_fmamk_f32 v82, v79, 0xbf3504f3, v77
	v_fma_f32 v90, v90, 2.0, -v81
	v_add_f32_e32 v113, v95, v71
	v_fmamk_f32 v97, v78, 0xbf3504f3, v72
	v_fma_f32 v81, v81, 2.0, -v102
	v_fmac_f32_e32 v82, 0xbf3504f3, v92
	v_fmamk_f32 v89, v92, 0xbf3504f3, v90
	v_fmamk_f32 v50, v113, 0x3f3504f3, v112
	v_fmac_f32_e32 v97, 0xbf3504f3, v88
	v_fma_f32 v80, v95, 2.0, -v113
	v_fmamk_f32 v49, v96, 0x3f3504f3, v111
	s_delay_alu instid0(VALU_DEP_4)
	v_dual_fmac_f32 v89, 0x3f3504f3, v79 :: v_dual_fmac_f32 v50, 0x3f3504f3, v96
	v_fma_f32 v79, v69, 2.0, -v96
	v_fmac_f32_e32 v101, 0xbf3504f3, v83
	v_sub_f32_e32 v83, v64, v66
	v_fmamk_f32 v85, v102, 0x3f6c835e, v100
	v_fma_f32 v121, v72, 2.0, -v97
	v_fma_f32 v99, v99, 2.0, -v110
	;; [unrolled: 1-line block ×3, first 2 shown]
	v_sub_f32_e32 v93, v65, v73
	v_fma_f32 v91, v64, 2.0, -v83
	v_fma_f32 v95, v77, 2.0, -v82
	;; [unrolled: 1-line block ×3, first 2 shown]
	v_fmamk_f32 v66, v88, 0xbec3ef15, v115
	v_fmamk_f32 v64, v79, 0xbf3504f3, v114
	;; [unrolled: 1-line block ×3, first 2 shown]
	v_fma_f32 v92, v65, 2.0, -v93
	v_fma_f32 v72, v103, 2.0, -v70
	;; [unrolled: 1-line block ×3, first 2 shown]
	v_fmamk_f32 v65, v80, 0xbf3504f3, v94
	v_fmamk_f32 v67, v81, 0xbec3ef15, v120
	v_dual_add_f32 v69, v93, v70 :: v_dual_fmamk_f32 v70, v82, 0x3ec3ef15, v97
	v_fmamk_f32 v71, v89, 0x3ec3ef15, v110
	v_dual_fmac_f32 v49, 0xbf3504f3, v113 :: v_dual_fmac_f32 v64, 0xbf3504f3, v80
	v_dual_fmac_f32 v84, 0xbec3ef15, v102 :: v_dual_sub_f32 v73, v92, v73
	v_dual_fmamk_f32 v77, v95, 0xbf6c835e, v121 :: v_dual_fmac_f32 v66, 0xbf6c835e, v81
	v_fmamk_f32 v78, v90, 0xbf6c835e, v99
	v_dual_fmac_f32 v85, 0x3ec3ef15, v101 :: v_dual_sub_f32 v72, v91, v72
	v_fmac_f32_e32 v65, 0x3f3504f3, v79
	v_fmac_f32_e32 v67, 0x3f6c835e, v88
	s_delay_alu instid0(VALU_DEP_4)
	v_fmac_f32_e32 v78, 0x3ec3ef15, v95
	v_sub_f32_e32 v68, v83, v68
	v_fmac_f32_e32 v70, 0xbf6c835e, v89
	v_fmac_f32_e32 v71, 0x3f6c835e, v82
	v_fma_f32 v81, v111, 2.0, -v49
	v_fma_f32 v82, v112, 2.0, -v50
	;; [unrolled: 1-line block ×4, first 2 shown]
	v_fmac_f32_e32 v77, 0xbec3ef15, v90
	s_barrier_signal -1
	s_barrier_wait -1
	global_inv scope:SCOPE_SE
	v_fma_f32 v80, v93, 2.0, -v69
	ds_store_2addr_b64 v108, v[49:50], v[84:85] offset0:94 offset1:119
	v_fma_f32 v49, v91, 2.0, -v72
	v_fma_f32 v50, v92, 2.0, -v73
	;; [unrolled: 1-line block ×9, first 2 shown]
	ds_store_2addr_b64 v172, v[81:82], v[88:89] offset0:150 offset1:175
	ds_store_2addr_b64 v51, v[64:65], v[66:67] offset0:122 offset1:147
	v_fma_f32 v64, v121, 2.0, -v77
	v_fma_f32 v65, v99, 2.0, -v78
	ds_store_2addr_b64 v108, v[68:69], v[70:71] offset0:44 offset1:69
	ds_store_2addr_b64 v172, v[90:91], v[92:93] offset0:50 offset1:75
	;; [unrolled: 1-line block ×4, first 2 shown]
	ds_store_2addr_b64 v172, v[49:50], v[64:65] offset1:25
	global_wb scope:SCOPE_SE
	s_wait_dscnt 0x0
	s_barrier_signal -1
	s_barrier_wait -1
	global_inv scope:SCOPE_SE
	ds_load_2addr_b64 v[88:91], v161 offset1:75
	ds_load_2addr_b64 v[92:95], v48 offset0:44 offset1:144
	ds_load_2addr_b64 v[112:115], v106 offset0:32 offset1:107
	;; [unrolled: 1-line block ×6, first 2 shown]
	ds_load_b64 v[120:121], v161 offset:8800
	s_and_saveexec_b32 s1, s0
	s_cbranch_execz .LBB0_13
; %bb.12:
	ds_load_b64 v[84:85], v161 offset:3000
	ds_load_b64 v[116:117], v161 offset:6200
	;; [unrolled: 1-line block ×3, first 2 shown]
.LBB0_13:
	s_wait_alu 0xfffe
	s_or_b32 exec_lo, exec_lo, s1
	v_lshlrev_b32_e32 v48, 4, v162
	v_lshlrev_b32_e32 v50, 4, v76
	v_lshl_add_u32 v164, v162, 3, v163
	global_load_b128 v[80:83], v48, s[2:3] offset:3160
	v_lshlrev_b32_e32 v49, 4, v75
	global_load_b128 v[76:79], v49, s[2:3] offset:3160
	s_wait_loadcnt_dscnt 0x106
	v_dual_mul_f32 v174, v94, v81 :: v_dual_lshlrev_b32 v49, 4, v74
	s_wait_dscnt 0x5
	v_dual_mul_f32 v175, v113, v83 :: v_dual_add_nc_u32 v48, 0x12c0, v48
	v_mul_f32_e32 v160, v95, v81
	s_wait_loadcnt 0x0
	v_mul_f32_e32 v179, v115, v79
	s_wait_dscnt 0x4
	v_mul_f32_e32 v177, v109, v77
	s_clause 0x2
	global_load_b128 v[72:75], v50, s[2:3] offset:3160
	global_load_b128 v[68:71], v49, s[2:3] offset:3160
	;; [unrolled: 1-line block ×3, first 2 shown]
	v_add_co_u32 v48, s1, 0x177, v162
	s_wait_alu 0xf1ff
	v_add_co_ci_u32_e64 v49, null, 0, 0, s1
	v_add_co_u32 v50, s1, 0xffffffe7, v162
	s_wait_alu 0xf1ff
	v_add_co_ci_u32_e64 v51, null, 0, -1, s1
	v_mul_f32_e32 v176, v112, v83
	s_delay_alu instid0(VALU_DEP_3) | instskip(SKIP_1) | instid1(VALU_DEP_4)
	v_cndmask_b32_e64 v48, v50, v48, s0
	v_mul_f32_e32 v180, v114, v79
	v_cndmask_b32_e64 v49, v51, v49, s0
	v_fma_f32 v94, v94, v80, -v160
	v_fmac_f32_e32 v174, v95, v80
	v_fma_f32 v95, v112, v82, -v175
	v_mul_f32_e32 v178, v108, v77
	v_lshlrev_b64_e32 v[48:49], 4, v[48:49]
	v_fma_f32 v108, v108, v76, -v177
	s_delay_alu instid0(VALU_DEP_2) | instskip(SKIP_1) | instid1(VALU_DEP_3)
	v_add_co_u32 v48, s1, s2, v48
	s_wait_alu 0xf1ff
	v_add_co_ci_u32_e64 v49, s1, s3, v49, s1
	global_load_b128 v[48:51], v[48:49], off offset:3160
	s_wait_loadcnt_dscnt 0x302
	v_dual_mul_f32 v183, v101, v75 :: v_dual_mul_f32 v182, v110, v73
	s_wait_loadcnt 0x2
	v_mul_f32_e32 v187, v103, v71
	v_dual_mul_f32 v184, v100, v75 :: v_dual_mul_f32 v181, v111, v73
	s_wait_dscnt 0x1
	v_dual_mul_f32 v185, v105, v69 :: v_dual_mul_f32 v188, v102, v71
	v_dual_fmac_f32 v176, v113, v82 :: v_dual_sub_f32 v113, v94, v95
	s_wait_loadcnt_dscnt 0x100
	v_dual_fmac_f32 v180, v115, v78 :: v_dual_mul_f32 v115, v120, v67
	v_mul_f32_e32 v186, v104, v69
	v_fmac_f32_e32 v182, v111, v72
	v_dual_fmac_f32 v184, v101, v74 :: v_dual_mul_f32 v101, v107, v65
	v_mul_f32_e32 v112, v106, v65
	v_fmac_f32_e32 v178, v109, v76
	v_fma_f32 v109, v114, v78, -v179
	v_fma_f32 v110, v110, v72, -v181
	;; [unrolled: 1-line block ×6, first 2 shown]
	v_fmac_f32_e32 v115, v121, v66
	v_dual_fmac_f32 v186, v105, v68 :: v_dual_sub_f32 v177, v108, v109
	v_add_f32_e32 v101, v88, v94
	v_dual_add_f32 v105, v174, v176 :: v_dual_fmac_f32 v188, v103, v70
	v_add_f32_e32 v103, v89, v174
	v_sub_f32_e32 v179, v182, v184
	v_dual_add_f32 v181, v97, v182 :: v_dual_fmac_f32 v112, v107, v64
	v_sub_f32_e32 v183, v110, v111
	v_dual_sub_f32 v107, v174, v176 :: v_dual_mul_f32 v102, v121, v67
	v_add_f32_e32 v121, v108, v109
	v_add_f32_e32 v175, v178, v180
	v_sub_f32_e32 v160, v178, v180
	v_dual_add_f32 v174, v91, v178 :: v_dual_sub_f32 v187, v186, v188
	v_fma_f32 v114, v120, v66, -v102
	v_dual_add_f32 v102, v94, v95 :: v_dual_add_f32 v185, v100, v104
	v_dual_add_f32 v120, v90, v108 :: v_dual_add_f32 v189, v99, v186
	v_add_f32_e32 v178, v110, v111
	s_delay_alu instid0(VALU_DEP_3)
	v_fma_f32 v88, -0.5, v102, v88
	v_fma_f32 v89, -0.5, v105, v89
	v_add_f32_e32 v108, v96, v110
	v_add_f32_e32 v110, v98, v100
	;; [unrolled: 1-line block ×3, first 2 shown]
	v_sub_f32_e32 v190, v100, v104
	v_dual_add_f32 v94, v101, v95 :: v_dual_add_f32 v101, v174, v180
	v_dual_add_f32 v95, v103, v176 :: v_dual_add_f32 v100, v120, v109
	v_add_f32_e32 v105, v189, v188
	v_fma_f32 v90, -0.5, v121, v90
	v_fmac_f32_e32 v91, -0.5, v175
	v_add_f32_e32 v103, v181, v184
	v_fma_f32 v96, -0.5, v178, v96
	v_add_f32_e32 v120, v92, v106
	v_add_f32_e32 v121, v106, v114
	v_dual_fmamk_f32 v109, v177, 0xbf5db3d7, v91 :: v_dual_sub_f32 v178, v106, v114
	s_wait_loadcnt 0x0
	v_dual_mul_f32 v181, v116, v49 :: v_dual_fmamk_f32 v106, v107, 0x3f5db3d7, v88
	v_dual_fmac_f32 v88, 0xbf5db3d7, v107 :: v_dual_fmamk_f32 v107, v113, 0xbf5db3d7, v89
	v_dual_add_f32 v182, v182, v184 :: v_dual_fmac_f32 v99, -0.5, v186
	v_dual_add_f32 v102, v108, v111 :: v_dual_add_f32 v175, v93, v112
	v_mul_f32_e32 v180, v117, v49
	s_delay_alu instid0(VALU_DEP_3) | instskip(SKIP_3) | instid1(VALU_DEP_4)
	v_fma_f32 v97, -0.5, v182, v97
	v_add_f32_e32 v176, v112, v115
	v_mul_f32_e32 v182, v119, v51
	v_dual_add_f32 v104, v110, v104 :: v_dual_fmac_f32 v89, 0x3f5db3d7, v113
	v_dual_fmamk_f32 v111, v183, 0xbf5db3d7, v97 :: v_dual_mul_f32 v184, v118, v51
	s_delay_alu instid0(VALU_DEP_4)
	v_fmac_f32_e32 v93, -0.5, v176
	v_fmamk_f32 v113, v190, 0xbf5db3d7, v99
	v_fmac_f32_e32 v99, 0x3f5db3d7, v190
	v_fmac_f32_e32 v181, v117, v48
	v_fma_f32 v118, v118, v50, -v182
	v_fmac_f32_e32 v184, v119, v50
	v_add_f32_e32 v114, v120, v114
	v_fma_f32 v120, v116, v48, -v180
	v_fmamk_f32 v108, v160, 0x3f5db3d7, v90
	v_dual_sub_f32 v174, v112, v115 :: v_dual_fmac_f32 v91, 0x3f5db3d7, v177
	v_fmac_f32_e32 v90, 0xbf5db3d7, v160
	v_fma_f32 v98, -0.5, v185, v98
	v_dual_fmac_f32 v97, 0x3f5db3d7, v183 :: v_dual_fmamk_f32 v110, v179, 0x3f5db3d7, v96
	v_fmac_f32_e32 v96, 0xbf5db3d7, v179
	v_add_f32_e32 v115, v175, v115
	v_fmamk_f32 v117, v178, 0xbf5db3d7, v93
	v_fmac_f32_e32 v93, 0x3f5db3d7, v178
	ds_store_b64 v164, v[106:107] offset:3200
	ds_store_b64 v164, v[88:89] offset:6400
	ds_store_2addr_b64 v161, v[94:95], v[100:101] offset1:75
	ds_store_b64 v164, v[108:109] offset:3800
	ds_store_b64 v164, v[90:91] offset:7000
	;; [unrolled: 1-line block ×6, first 2 shown]
	v_add_f32_e32 v89, v84, v120
	v_add_f32_e32 v88, v120, v118
	;; [unrolled: 1-line block ×3, first 2 shown]
	v_dual_fmamk_f32 v112, v187, 0x3f5db3d7, v98 :: v_dual_sub_f32 v91, v181, v184
	v_fmac_f32_e32 v98, 0xbf5db3d7, v187
	v_fma_f32 v92, -0.5, v121, v92
	s_delay_alu instid0(VALU_DEP_4) | instskip(SKIP_1) | instid1(VALU_DEP_3)
	v_dual_add_f32 v94, v85, v181 :: v_dual_fmac_f32 v85, -0.5, v90
	v_dual_fmac_f32 v84, -0.5, v88 :: v_dual_sub_f32 v95, v120, v118
	v_fmamk_f32 v116, v174, 0x3f5db3d7, v92
	v_fmac_f32_e32 v92, 0xbf5db3d7, v174
	v_add_f32_e32 v88, v89, v118
	s_delay_alu instid0(VALU_DEP_4)
	v_fmamk_f32 v90, v91, 0x3f5db3d7, v84
	v_dual_fmac_f32 v84, 0xbf5db3d7, v91 :: v_dual_fmamk_f32 v91, v95, 0xbf5db3d7, v85
	v_fmac_f32_e32 v85, 0x3f5db3d7, v95
	v_add_f32_e32 v89, v94, v184
	ds_store_b64 v161, v[112:113] offset:5000
	ds_store_b64 v161, v[98:99] offset:8200
	;; [unrolled: 1-line block ×5, first 2 shown]
	s_and_saveexec_b32 s1, s0
	s_cbranch_execz .LBB0_15
; %bb.14:
	ds_store_b64 v164, v[88:89] offset:3000
	ds_store_b64 v164, v[90:91] offset:6200
	;; [unrolled: 1-line block ×3, first 2 shown]
.LBB0_15:
	s_wait_alu 0xfffe
	s_or_b32 exec_lo, exec_lo, s1
	s_add_nc_u64 s[2:3], s[16:17], 0x2580
	global_wb scope:SCOPE_SE
	s_wait_dscnt 0x0
	s_barrier_signal -1
	s_barrier_wait -1
	global_inv scope:SCOPE_SE
	s_clause 0xe
	global_load_b64 v[104:105], v[124:125], off offset:9600
	global_load_b64 v[119:120], v159, s[2:3] offset:1920
	global_load_b64 v[182:183], v159, s[2:3] offset:3840
	global_load_b64 v[184:185], v159, s[2:3] offset:5760
	global_load_b64 v[186:187], v159, s[2:3] offset:7680
	global_load_b64 v[188:189], v159, s[2:3] offset:600
	global_load_b64 v[190:191], v159, s[2:3] offset:2520
	global_load_b64 v[192:193], v159, s[2:3] offset:4440
	global_load_b64 v[194:195], v159, s[2:3] offset:6360
	global_load_b64 v[196:197], v159, s[2:3] offset:8280
	global_load_b64 v[198:199], v159, s[2:3] offset:1200
	global_load_b64 v[200:201], v159, s[2:3] offset:5040
	global_load_b64 v[202:203], v159, s[2:3] offset:3120
	global_load_b64 v[204:205], v159, s[2:3] offset:6960
	global_load_b64 v[206:207], v159, s[2:3] offset:8880
	ds_load_2addr_b64 v[94:97], v161 offset1:75
	ds_load_2addr_b64 v[98:101], v161 offset0:150 offset1:240
	v_add_nc_u32_e32 v103, 0xc00, v161
	v_add_nc_u32_e32 v102, 0x1000, v161
	s_wait_loadcnt_dscnt 0xe01
	v_mul_f32_e32 v160, v95, v105
	s_wait_loadcnt_dscnt 0xd00
	v_dual_mul_f32 v121, v94, v105 :: v_dual_mul_f32 v210, v101, v120
	v_mul_f32_e32 v105, v100, v120
	ds_load_2addr_b64 v[107:110], v103 offset0:96 offset1:171
	ds_load_2addr_b64 v[111:114], v102 offset0:118 offset1:208
	v_add_nc_u32_e32 v106, 0x1c00, v161
	v_add_nc_u32_e32 v93, 0x800, v161
	s_wait_loadcnt 0x9
	v_mul_f32_e32 v215, v97, v189
	v_fmac_f32_e32 v105, v101, v119
	s_wait_loadcnt 0x4
	v_mul_f32_e32 v220, v99, v199
	s_wait_dscnt 0x1
	v_mul_f32_e32 v211, v107, v183
	ds_load_2addr_b64 v[115:118], v106 offset0:64 offset1:139
	v_add_nc_u32_e32 v92, 0x1800, v161
	s_wait_dscnt 0x1
	v_dual_mul_f32 v212, v108, v183 :: v_dual_mul_f32 v213, v114, v185
	v_mul_f32_e32 v183, v113, v185
	v_mul_f32_e32 v217, v110, v193
	v_fmac_f32_e32 v211, v108, v182
	s_wait_loadcnt_dscnt 0x300
	v_dual_mul_f32 v222, v112, v201 :: v_dual_mul_f32 v185, v115, v187
	ds_load_2addr_b64 v[174:177], v93 offset0:59 offset1:134
	ds_load_2addr_b64 v[178:181], v92 offset0:27 offset1:102
	ds_load_b64 v[208:209], v161 offset:8880
	v_mul_f32_e32 v214, v116, v187
	v_mul_f32_e32 v187, v96, v189
	;; [unrolled: 1-line block ×3, first 2 shown]
	v_fmac_f32_e32 v121, v95, v104
	s_wait_dscnt 0x2
	v_dual_fmac_f32 v185, v116, v186 :: v_dual_mul_f32 v216, v175, v191
	v_mul_f32_e32 v189, v174, v191
	s_wait_loadcnt_dscnt 0x0
	v_mul_f32_e32 v224, v209, v207
	v_dual_mul_f32 v191, v109, v193 :: v_dual_mul_f32 v218, v179, v195
	v_mul_f32_e32 v193, v178, v195
	v_mul_f32_e32 v195, v117, v197
	;; [unrolled: 1-line block ×9, first 2 shown]
	v_fma_f32 v120, v94, v104, -v160
	v_fma_f32 v104, v100, v119, -v210
	;; [unrolled: 1-line block ×4, first 2 shown]
	v_fmac_f32_e32 v183, v114, v184
	v_fma_f32 v184, v115, v186, -v214
	v_fma_f32 v186, v96, v188, -v215
	v_fmac_f32_e32 v187, v97, v188
	v_fma_f32 v188, v174, v190, -v216
	v_fmac_f32_e32 v189, v175, v190
	;; [unrolled: 2-line block ×10, first 2 shown]
	ds_store_2addr_b64 v161, v[120:121], v[186:187] offset1:75
	ds_store_2addr_b64 v103, v[210:211], v[190:191] offset0:96 offset1:171
	ds_store_2addr_b64 v106, v[184:185], v[194:195] offset0:64 offset1:139
	;; [unrolled: 1-line block ×6, first 2 shown]
	ds_store_b64 v161, v[204:205] offset:8880
	s_and_saveexec_b32 s1, vcc_lo
	s_cbranch_execz .LBB0_17
; %bb.16:
	s_wait_alu 0xfffe
	v_add_co_u32 v94, s2, s2, v159
	s_wait_alu 0xf1ff
	v_add_co_ci_u32_e64 v95, null, s3, 0, s2
	s_clause 0x4
	global_load_b64 v[96:97], v[94:95], off offset:1800
	global_load_b64 v[104:105], v[94:95], off offset:3720
	global_load_b64 v[107:108], v[94:95], off offset:5640
	global_load_b64 v[109:110], v[94:95], off offset:7560
	global_load_b64 v[111:112], v[94:95], off offset:9480
	ds_load_b64 v[94:95], v164 offset:1800
	v_add_nc_u32_e32 v114, 0xe80, v161
	v_add_nc_u32_e32 v115, 0x1d80, v161
	s_wait_loadcnt_dscnt 0x400
	v_mul_f32_e32 v99, v95, v97
	v_mul_f32_e32 v98, v94, v97
	s_delay_alu instid0(VALU_DEP_2) | instskip(NEXT) | instid1(VALU_DEP_2)
	v_fma_f32 v97, v94, v96, -v99
	v_fmac_f32_e32 v98, v95, v96
	ds_store_b64 v164, v[97:98] offset:1800
	ds_load_2addr_b64 v[94:97], v114 offset0:1 offset1:241
	ds_load_2addr_b64 v[98:101], v115 offset0:1 offset1:241
	s_wait_loadcnt_dscnt 0x0
	v_dual_mul_f32 v116, v95, v105 :: v_dual_mul_f32 v119, v101, v112
	v_dual_mul_f32 v113, v94, v105 :: v_dual_mul_f32 v118, v99, v110
	v_mul_f32_e32 v117, v97, v108
	v_dual_mul_f32 v105, v96, v108 :: v_dual_mul_f32 v108, v98, v110
	v_mul_f32_e32 v110, v100, v112
	v_fma_f32 v112, v94, v104, -v116
	s_delay_alu instid0(VALU_DEP_3) | instskip(NEXT) | instid1(VALU_DEP_3)
	v_fmac_f32_e32 v105, v97, v107
	v_dual_fmac_f32 v113, v95, v104 :: v_dual_fmac_f32 v110, v101, v111
	v_fma_f32 v104, v96, v107, -v117
	v_fma_f32 v107, v98, v109, -v118
	v_fmac_f32_e32 v108, v99, v109
	v_fma_f32 v109, v100, v111, -v119
	ds_store_2addr_b64 v114, v[112:113], v[104:105] offset0:1 offset1:241
	ds_store_2addr_b64 v115, v[107:108], v[109:110] offset0:1 offset1:241
.LBB0_17:
	s_wait_alu 0xfffe
	s_or_b32 exec_lo, exec_lo, s1
	global_wb scope:SCOPE_SE
	s_wait_dscnt 0x0
	s_barrier_signal -1
	s_barrier_wait -1
	global_inv scope:SCOPE_SE
	ds_load_2addr_b64 v[94:97], v161 offset1:75
	ds_load_2addr_b64 v[98:101], v161 offset0:150 offset1:240
	ds_load_2addr_b64 v[114:117], v103 offset0:96 offset1:171
	;; [unrolled: 1-line block ×6, first 2 shown]
	ds_load_b64 v[92:93], v161 offset:8880
	s_and_saveexec_b32 s1, vcc_lo
	s_cbranch_execz .LBB0_19
; %bb.18:
	v_add_nc_u32_e32 v84, 0x700, v164
	v_add_nc_u32_e32 v85, 0x1600, v164
	ds_load_2addr_b64 v[88:91], v84 offset0:1 offset1:241
	ds_load_2addr_b64 v[84:87], v85 offset0:1 offset1:241
	ds_load_b64 v[122:123], v164 offset:9480
.LBB0_19:
	s_wait_alu 0xfffe
	s_or_b32 exec_lo, exec_lo, s1
	s_wait_dscnt 0x4
	v_dual_add_f32 v159, v114, v104 :: v_dual_sub_f32 v178, v100, v114
	s_wait_dscnt 0x3
	v_dual_add_f32 v160, v94, v100 :: v_dual_sub_f32 v177, v101, v119
	v_sub_f32_e32 v175, v115, v105
	s_delay_alu instid0(VALU_DEP_3)
	v_fma_f32 v174, -0.5, v159, v94
	v_sub_f32_e32 v159, v118, v104
	v_add_f32_e32 v179, v100, v118
	v_add_f32_e32 v160, v160, v114
	global_wb scope:SCOPE_SE
	s_wait_dscnt 0x0
	v_fmamk_f32 v176, v177, 0xbf737871, v174
	v_dual_fmac_f32 v174, 0x3f737871, v177 :: v_dual_add_f32 v159, v178, v159
	v_fma_f32 v178, -0.5, v179, v94
	v_add_f32_e32 v94, v160, v104
	s_delay_alu instid0(VALU_DEP_4) | instskip(SKIP_1) | instid1(VALU_DEP_3)
	v_dual_sub_f32 v181, v114, v100 :: v_dual_fmac_f32 v176, 0xbf167918, v175
	v_dual_sub_f32 v160, v104, v118 :: v_dual_add_f32 v179, v115, v105
	v_add_f32_e32 v182, v94, v118
	v_sub_f32_e32 v100, v100, v118
	v_add_f32_e32 v118, v101, v119
	v_fmamk_f32 v180, v175, 0x3f737871, v178
	v_fmac_f32_e32 v176, 0x3e9e377a, v159
	v_fmac_f32_e32 v178, 0xbf737871, v175
	v_sub_f32_e32 v114, v114, v104
	v_fmac_f32_e32 v174, 0x3f167918, v175
	v_fma_f32 v175, -0.5, v179, v95
	v_add_f32_e32 v94, v95, v101
	v_fma_f32 v179, -0.5, v118, v95
	v_dual_sub_f32 v104, v101, v115 :: v_dual_sub_f32 v95, v115, v101
	v_dual_sub_f32 v101, v105, v119 :: v_dual_fmac_f32 v180, 0xbf167918, v177
	s_delay_alu instid0(VALU_DEP_3) | instskip(SKIP_1) | instid1(VALU_DEP_2)
	v_dual_add_f32 v160, v181, v160 :: v_dual_fmamk_f32 v181, v114, 0xbf737871, v179
	s_barrier_signal -1
	v_add_f32_e32 v95, v95, v101
	v_fmac_f32_e32 v178, 0x3f167918, v177
	v_fmamk_f32 v177, v100, 0x3f737871, v175
	v_fmac_f32_e32 v181, 0x3f167918, v100
	v_dual_fmac_f32 v175, 0xbf737871, v100 :: v_dual_add_f32 v94, v94, v115
	v_add_f32_e32 v101, v96, v106
	s_delay_alu instid0(VALU_DEP_4) | instskip(SKIP_1) | instid1(VALU_DEP_4)
	v_fmac_f32_e32 v177, 0x3f167918, v114
	v_dual_fmac_f32 v174, 0x3e9e377a, v159 :: v_dual_sub_f32 v159, v119, v105
	v_dual_fmac_f32 v175, 0xbf167918, v114 :: v_dual_add_f32 v94, v94, v105
	v_fmac_f32_e32 v181, 0x3e9e377a, v95
	v_sub_f32_e32 v105, v106, v116
	v_dual_sub_f32 v115, v107, v121 :: v_dual_fmac_f32 v178, 0x3e9e377a, v160
	s_delay_alu instid0(VALU_DEP_4) | instskip(SKIP_4) | instid1(VALU_DEP_3)
	v_add_f32_e32 v183, v94, v119
	v_add_f32_e32 v94, v104, v159
	v_fmac_f32_e32 v180, 0x3e9e377a, v160
	v_dual_add_f32 v104, v116, v110 :: v_dual_add_f32 v119, v106, v120
	s_barrier_wait -1
	v_fmac_f32_e32 v175, 0x3e9e377a, v94
	v_fmac_f32_e32 v179, 0x3f737871, v114
	;; [unrolled: 1-line block ×3, first 2 shown]
	v_fma_f32 v104, -0.5, v104, v96
	v_sub_f32_e32 v118, v120, v110
	v_fma_f32 v96, -0.5, v119, v96
	v_fmac_f32_e32 v179, 0xbf167918, v100
	v_add_f32_e32 v94, v101, v116
	v_dual_fmamk_f32 v114, v115, 0xbf737871, v104 :: v_dual_sub_f32 v101, v117, v111
	s_delay_alu instid0(VALU_DEP_3) | instskip(NEXT) | instid1(VALU_DEP_3)
	v_dual_add_f32 v100, v105, v118 :: v_dual_fmac_f32 v179, 0x3e9e377a, v95
	v_dual_add_f32 v94, v94, v110 :: v_dual_add_f32 v105, v97, v107
	s_delay_alu instid0(VALU_DEP_3) | instskip(NEXT) | instid1(VALU_DEP_2)
	v_dual_sub_f32 v95, v110, v120 :: v_dual_fmac_f32 v114, 0xbf167918, v101
	v_dual_add_f32 v119, v117, v111 :: v_dual_add_f32 v118, v94, v120
	v_sub_f32_e32 v94, v116, v106
	v_sub_f32_e32 v110, v116, v110
	v_fmamk_f32 v184, v101, 0x3f737871, v96
	v_fmac_f32_e32 v96, 0xbf737871, v101
	global_inv scope:SCOPE_SE
	v_dual_add_f32 v94, v94, v95 :: v_dual_add_f32 v95, v105, v117
	v_fma_f32 v105, -0.5, v119, v97
	v_fmac_f32_e32 v104, 0x3f737871, v115
	s_delay_alu instid0(VALU_DEP_1) | instskip(SKIP_1) | instid1(VALU_DEP_2)
	v_dual_add_f32 v95, v95, v111 :: v_dual_fmac_f32 v104, 0x3f167918, v101
	v_sub_f32_e32 v101, v106, v120
	v_dual_fmac_f32 v114, 0x3e9e377a, v100 :: v_dual_add_f32 v119, v95, v121
	s_delay_alu instid0(VALU_DEP_3) | instskip(SKIP_1) | instid1(VALU_DEP_1)
	v_dual_sub_f32 v95, v117, v107 :: v_dual_fmac_f32 v104, 0x3e9e377a, v100
	v_add_f32_e32 v100, v107, v121
	v_dual_fmac_f32 v97, -0.5, v100 :: v_dual_sub_f32 v116, v121, v111
	v_sub_f32_e32 v100, v111, v121
	v_dual_sub_f32 v111, v109, v93 :: v_dual_fmac_f32 v184, 0xbf167918, v115
	s_delay_alu instid0(VALU_DEP_3)
	v_fmamk_f32 v185, v110, 0xbf737871, v97
	v_fmac_f32_e32 v96, 0x3f167918, v115
	v_fmamk_f32 v115, v101, 0x3f737871, v105
	v_fmac_f32_e32 v105, 0xbf737871, v101
	v_fmac_f32_e32 v97, 0x3f737871, v110
	;; [unrolled: 1-line block ×3, first 2 shown]
	s_delay_alu instid0(VALU_DEP_4) | instskip(NEXT) | instid1(VALU_DEP_4)
	v_fmac_f32_e32 v115, 0x3f167918, v110
	v_dual_fmac_f32 v105, 0xbf167918, v110 :: v_dual_sub_f32 v106, v107, v117
	v_dual_add_f32 v117, v108, v92 :: v_dual_fmac_f32 v184, 0x3e9e377a, v94
	v_dual_add_f32 v95, v95, v100 :: v_dual_fmac_f32 v96, 0x3e9e377a, v94
	s_delay_alu instid0(VALU_DEP_3) | instskip(SKIP_1) | instid1(VALU_DEP_2)
	v_dual_add_f32 v94, v106, v116 :: v_dual_sub_f32 v107, v108, v102
	v_dual_add_f32 v106, v102, v112 :: v_dual_fmac_f32 v97, 0xbf167918, v101
	v_dual_add_f32 v100, v98, v108 :: v_dual_fmac_f32 v115, 0x3e9e377a, v94
	v_dual_fmac_f32 v105, 0x3e9e377a, v94 :: v_dual_sub_f32 v116, v92, v112
	s_delay_alu instid0(VALU_DEP_2) | instskip(NEXT) | instid1(VALU_DEP_4)
	v_dual_fmac_f32 v97, 0x3e9e377a, v95 :: v_dual_add_f32 v94, v100, v102
	v_fma_f32 v106, -0.5, v106, v98
	v_fmac_f32_e32 v185, 0x3e9e377a, v95
	s_delay_alu instid0(VALU_DEP_4) | instskip(SKIP_3) | instid1(VALU_DEP_2)
	v_add_f32_e32 v101, v107, v116
	v_fma_f32 v98, -0.5, v117, v98
	v_dual_add_f32 v94, v94, v112 :: v_dual_add_f32 v117, v103, v113
	v_dual_fmamk_f32 v110, v111, 0xbf737871, v106 :: v_dual_sub_f32 v95, v112, v92
	v_dual_add_f32 v107, v99, v109 :: v_dual_add_f32 v116, v94, v92
	v_sub_f32_e32 v94, v102, v108
	v_sub_f32_e32 v92, v108, v92
	v_fmac_f32_e32 v106, 0x3f737871, v111
	s_delay_alu instid0(VALU_DEP_3) | instskip(SKIP_3) | instid1(VALU_DEP_1)
	v_add_f32_e32 v94, v94, v95
	v_add_f32_e32 v95, v107, v103
	v_fma_f32 v107, -0.5, v117, v99
	v_sub_f32_e32 v100, v103, v113
	v_dual_add_f32 v95, v95, v113 :: v_dual_fmamk_f32 v120, v100, 0x3f737871, v98
	s_delay_alu instid0(VALU_DEP_1) | instskip(NEXT) | instid1(VALU_DEP_2)
	v_dual_fmac_f32 v98, 0xbf737871, v100 :: v_dual_add_f32 v117, v95, v93
	v_dual_sub_f32 v95, v103, v109 :: v_dual_fmac_f32 v120, 0xbf167918, v111
	s_delay_alu instid0(VALU_DEP_2) | instskip(SKIP_4) | instid1(VALU_DEP_3)
	v_fmac_f32_e32 v98, 0x3f167918, v111
	v_fmamk_f32 v111, v92, 0x3f737871, v107
	v_fmac_f32_e32 v110, 0xbf167918, v100
	v_fmac_f32_e32 v106, 0x3f167918, v100
	v_dual_add_f32 v100, v109, v93 :: v_dual_fmac_f32 v107, 0xbf737871, v92
	v_fmac_f32_e32 v110, 0x3e9e377a, v101
	s_delay_alu instid0(VALU_DEP_3) | instskip(NEXT) | instid1(VALU_DEP_3)
	v_dual_fmac_f32 v106, 0x3e9e377a, v101 :: v_dual_sub_f32 v101, v102, v112
	v_dual_sub_f32 v102, v109, v103 :: v_dual_fmac_f32 v99, -0.5, v100
	v_add_f32_e32 v103, v90, v122
	s_delay_alu instid0(VALU_DEP_3)
	v_fmac_f32_e32 v107, 0xbf167918, v101
	v_sub_f32_e32 v108, v93, v113
	v_dual_sub_f32 v93, v113, v93 :: v_dual_fmac_f32 v120, 0x3e9e377a, v94
	v_fmac_f32_e32 v111, 0x3f167918, v101
	v_fmamk_f32 v121, v101, 0xbf737871, v99
	v_fmac_f32_e32 v99, 0x3f737871, v101
	s_delay_alu instid0(VALU_DEP_4) | instskip(SKIP_2) | instid1(VALU_DEP_2)
	v_dual_add_f32 v93, v95, v93 :: v_dual_fmac_f32 v98, 0x3e9e377a, v94
	v_dual_add_f32 v94, v102, v108 :: v_dual_add_f32 v95, v88, v90
	v_sub_f32_e32 v101, v91, v123
	v_fmac_f32_e32 v111, 0x3e9e377a, v94
	v_dual_add_f32 v100, v84, v86 :: v_dual_fmac_f32 v99, 0xbf167918, v92
	v_fmac_f32_e32 v121, 0x3f167918, v92
	v_dual_fmac_f32 v107, 0x3e9e377a, v94 :: v_dual_add_f32 v92, v95, v84
	v_sub_f32_e32 v95, v85, v87
	s_delay_alu instid0(VALU_DEP_4) | instskip(NEXT) | instid1(VALU_DEP_4)
	v_fma_f32 v159, -0.5, v100, v88
	v_dual_sub_f32 v100, v90, v84 :: v_dual_fmac_f32 v121, 0x3e9e377a, v93
	s_delay_alu instid0(VALU_DEP_4) | instskip(NEXT) | instid1(VALU_DEP_3)
	v_dual_add_f32 v92, v92, v86 :: v_dual_fmac_f32 v99, 0x3e9e377a, v93
	v_fmamk_f32 v94, v101, 0xbf737871, v159
	v_dual_fmac_f32 v159, 0x3f737871, v101 :: v_dual_sub_f32 v102, v122, v86
	s_delay_alu instid0(VALU_DEP_3) | instskip(NEXT) | instid1(VALU_DEP_3)
	v_dual_add_f32 v93, v85, v87 :: v_dual_add_f32 v92, v92, v122
	v_fmac_f32_e32 v94, 0xbf167918, v95
	s_delay_alu instid0(VALU_DEP_3)
	v_dual_fmac_f32 v159, 0x3f167918, v95 :: v_dual_add_f32 v100, v100, v102
	v_fmac_f32_e32 v88, -0.5, v103
	v_sub_f32_e32 v102, v84, v90
	v_sub_f32_e32 v103, v86, v122
	v_fma_f32 v160, -0.5, v93, v89
	v_fmac_f32_e32 v94, 0x3e9e377a, v100
	v_dual_fmac_f32 v159, 0x3e9e377a, v100 :: v_dual_sub_f32 v84, v84, v86
	s_delay_alu instid0(VALU_DEP_4) | instskip(SKIP_4) | instid1(VALU_DEP_3)
	v_add_f32_e32 v93, v102, v103
	v_add_f32_e32 v102, v91, v123
	v_fmamk_f32 v100, v95, 0x3f737871, v88
	v_fmac_f32_e32 v88, 0xbf737871, v95
	v_dual_add_f32 v95, v89, v91 :: v_dual_sub_f32 v90, v90, v122
	v_dual_fmac_f32 v89, -0.5, v102 :: v_dual_fmac_f32 v100, 0xbf167918, v101
	s_delay_alu instid0(VALU_DEP_3) | instskip(NEXT) | instid1(VALU_DEP_3)
	v_fmac_f32_e32 v88, 0x3f167918, v101
	v_add_f32_e32 v101, v95, v85
	s_delay_alu instid0(VALU_DEP_4) | instskip(NEXT) | instid1(VALU_DEP_4)
	v_dual_fmamk_f32 v95, v90, 0x3f737871, v160 :: v_dual_sub_f32 v102, v123, v87
	v_fmac_f32_e32 v100, 0x3e9e377a, v93
	ds_store_2addr_b64 v170, v[182:183], v[176:177] offset1:1
	ds_store_2addr_b64 v170, v[180:181], v[178:179] offset0:2 offset1:3
	ds_store_b64 v170, v[174:175] offset:32
	ds_store_2addr_b64 v169, v[118:119], v[114:115] offset1:1
	ds_store_2addr_b64 v169, v[184:185], v[96:97] offset0:2 offset1:3
	ds_store_b64 v169, v[104:105] offset:32
	;; [unrolled: 3-line block ×3, first 2 shown]
	v_add_f32_e32 v86, v101, v87
	v_dual_sub_f32 v87, v87, v123 :: v_dual_fmac_f32 v88, 0x3e9e377a, v93
	v_sub_f32_e32 v93, v91, v85
	v_sub_f32_e32 v85, v85, v91
	s_delay_alu instid0(VALU_DEP_2) | instskip(SKIP_4) | instid1(VALU_DEP_3)
	v_add_f32_e32 v91, v93, v102
	v_add_f32_e32 v93, v86, v123
	v_fmac_f32_e32 v95, 0x3f167918, v84
	v_dual_fmac_f32 v160, 0xbf737871, v90 :: v_dual_fmamk_f32 v101, v84, 0xbf737871, v89
	v_fmac_f32_e32 v89, 0x3f737871, v84
	v_fmac_f32_e32 v95, 0x3e9e377a, v91
	s_delay_alu instid0(VALU_DEP_3) | instskip(NEXT) | instid1(VALU_DEP_4)
	v_fmac_f32_e32 v160, 0xbf167918, v84
	v_dual_fmac_f32 v101, 0x3f167918, v90 :: v_dual_add_f32 v84, v85, v87
	s_delay_alu instid0(VALU_DEP_4) | instskip(NEXT) | instid1(VALU_DEP_2)
	v_fmac_f32_e32 v89, 0xbf167918, v90
	v_dual_fmac_f32 v160, 0x3e9e377a, v91 :: v_dual_fmac_f32 v101, 0x3e9e377a, v84
	s_delay_alu instid0(VALU_DEP_2)
	v_fmac_f32_e32 v89, 0x3e9e377a, v84
	s_and_saveexec_b32 s1, vcc_lo
	s_cbranch_execz .LBB0_21
; %bb.20:
	v_lshl_add_u32 v86, v171, 3, v163
	s_delay_alu instid0(VALU_DEP_2)
	v_dual_mov_b32 v84, v88 :: v_dual_mov_b32 v85, v89
	ds_store_2addr_b64 v86, v[92:93], v[94:95] offset1:1
	ds_store_2addr_b64 v86, v[100:101], v[84:85] offset0:2 offset1:3
	ds_store_b64 v86, v[159:160] offset:32
.LBB0_21:
	s_wait_alu 0xfffe
	s_or_b32 exec_lo, exec_lo, s1
	v_add_nc_u32_e32 v90, 0xc00, v161
	v_add_nc_u32_e32 v91, 0x1000, v161
	;; [unrolled: 1-line block ×5, first 2 shown]
	global_wb scope:SCOPE_SE
	s_wait_dscnt 0x0
	s_barrier_signal -1
	s_barrier_wait -1
	global_inv scope:SCOPE_SE
	ds_load_2addr_b64 v[96:99], v161 offset1:75
	ds_load_2addr_b64 v[84:87], v161 offset0:150 offset1:240
	ds_load_2addr_b64 v[120:123], v90 offset0:96 offset1:171
	;; [unrolled: 1-line block ×6, first 2 shown]
	ds_load_b64 v[90:91], v161 offset:8880
	s_and_saveexec_b32 s1, vcc_lo
	s_cbranch_execz .LBB0_23
; %bb.22:
	v_add_nc_u32_e32 v88, 0x1600, v161
	ds_load_2addr_b64 v[100:103], v88 offset0:1 offset1:241
	v_add_nc_u32_e32 v88, 0x700, v161
	ds_load_b64 v[159:160], v161 offset:9480
	ds_load_2addr_b64 v[92:95], v88 offset0:1 offset1:241
	s_wait_dscnt 0x2
	v_dual_mov_b32 v89, v103 :: v_dual_mov_b32 v88, v102
.LBB0_23:
	s_wait_alu 0xfffe
	s_or_b32 exec_lo, exec_lo, s1
	s_wait_dscnt 0x5
	v_dual_mul_f32 v102, v25, v87 :: v_dual_mul_f32 v103, v27, v121
	v_mul_f32_e32 v25, v25, v86
	global_wb scope:SCOPE_SE
	s_wait_dscnt 0x0
	s_barrier_signal -1
	v_dual_fmac_f32 v102, v24, v86 :: v_dual_fmac_f32 v103, v26, v120
	v_fma_f32 v168, v24, v87, -v25
	v_mul_f32_e32 v24, v27, v120
	v_mul_f32_e32 v27, v23, v117
	;; [unrolled: 1-line block ×3, first 2 shown]
	s_barrier_wait -1
	global_inv scope:SCOPE_SE
	v_fma_f32 v120, v26, v121, -v24
	v_dual_fmac_f32 v27, v22, v116 :: v_dual_mul_f32 v116, v29, v113
	v_mul_f32_e32 v25, v21, v107
	s_delay_alu instid0(VALU_DEP_2) | instskip(NEXT) | instid1(VALU_DEP_2)
	v_dual_mul_f32 v21, v21, v106 :: v_dual_fmac_f32 v116, v28, v112
	v_fmac_f32_e32 v25, v20, v106
	s_delay_alu instid0(VALU_DEP_2)
	v_fma_f32 v106, v20, v107, -v21
	v_mul_f32_e32 v20, v29, v112
	v_mul_f32_e32 v112, v13, v115
	;; [unrolled: 1-line block ×5, first 2 shown]
	s_delay_alu instid0(VALU_DEP_4) | instskip(SKIP_1) | instid1(VALU_DEP_3)
	v_dual_mul_f32 v17, v17, v108 :: v_dual_fmac_f32 v112, v12, v114
	v_dual_mul_f32 v13, v13, v114 :: v_dual_add_f32 v24, v102, v27
	v_dual_fmac_f32 v31, v16, v108 :: v_dual_mul_f32 v108, v19, v119
	v_mul_f32_e32 v19, v19, v118
	v_fma_f32 v107, v22, v117, -v23
	v_fma_f32 v16, v16, v109, -v17
	;; [unrolled: 1-line block ×3, first 2 shown]
	v_fmac_f32_e32 v108, v18, v118
	v_fmac_f32_e32 v29, v30, v122
	v_fma_f32 v17, v18, v119, -v19
	v_mul_f32_e32 v13, v15, v105
	v_dual_mul_f32 v15, v15, v104 :: v_dual_mul_f32 v18, v5, v111
	v_fma_f32 v30, v30, v123, -v21
	v_mul_f32_e32 v5, v5, v110
	v_sub_f32_e32 v21, v102, v103
	s_delay_alu instid0(VALU_DEP_4) | instskip(SKIP_3) | instid1(VALU_DEP_4)
	v_dual_sub_f32 v23, v27, v25 :: v_dual_fmac_f32 v18, v4, v110
	v_fma_f32 v28, v28, v113, -v20
	v_fma_f32 v24, -0.5, v24, v96
	v_add_f32_e32 v87, v120, v106
	v_add_f32_e32 v23, v21, v23
	v_fmac_f32_e32 v13, v14, v104
	v_fma_f32 v14, v14, v105, -v15
	v_fma_f32 v15, v4, v111, -v5
	v_mul_f32_e32 v4, v9, v95
	v_mul_f32_e32 v9, v9, v94
	v_add_f32_e32 v21, v97, v168
	s_delay_alu instid0(VALU_DEP_3) | instskip(NEXT) | instid1(VALU_DEP_3)
	v_dual_mul_f32 v5, v11, v101 :: v_dual_fmac_f32 v4, v8, v94
	v_fma_f32 v8, v8, v95, -v9
	v_add_f32_e32 v9, v103, v25
	s_delay_alu instid0(VALU_DEP_3) | instskip(SKIP_1) | instid1(VALU_DEP_3)
	v_fmac_f32_e32 v5, v10, v100
	v_add_f32_e32 v95, v116, v108
	v_fma_f32 v20, -0.5, v9, v96
	v_sub_f32_e32 v9, v168, v107
	v_mul_f32_e32 v19, v7, v91
	v_mul_f32_e32 v7, v7, v90
	s_delay_alu instid0(VALU_DEP_3) | instskip(SKIP_1) | instid1(VALU_DEP_3)
	v_dual_mul_f32 v11, v11, v100 :: v_dual_fmamk_f32 v22, v9, 0xbf737871, v20
	v_fmac_f32_e32 v20, 0x3f737871, v9
	v_fma_f32 v109, v6, v91, -v7
	v_mul_f32_e32 v7, v1, v89
	v_fmac_f32_e32 v19, v6, v90
	v_fma_f32 v6, v10, v101, -v11
	v_dual_mul_f32 v10, v1, v88 :: v_dual_sub_f32 v91, v28, v17
	s_delay_alu instid0(VALU_DEP_4) | instskip(SKIP_1) | instid1(VALU_DEP_3)
	v_dual_fmac_f32 v7, v0, v88 :: v_dual_sub_f32 v88, v107, v106
	v_add_f32_e32 v11, v96, v102
	v_fma_f32 v0, v0, v89, -v10
	v_dual_sub_f32 v89, v103, v25 :: v_dual_sub_f32 v110, v6, v8
	s_delay_alu instid0(VALU_DEP_3) | instskip(SKIP_1) | instid1(VALU_DEP_2)
	v_dual_add_f32 v10, v11, v103 :: v_dual_sub_f32 v11, v120, v106
	v_sub_f32_e32 v94, v108, v31
	v_add_f32_e32 v10, v10, v25
	s_delay_alu instid0(VALU_DEP_3) | instskip(SKIP_1) | instid1(VALU_DEP_3)
	v_fmamk_f32 v86, v11, 0x3f737871, v24
	v_fmac_f32_e32 v24, 0xbf737871, v11
	v_add_f32_e32 v26, v10, v27
	s_delay_alu instid0(VALU_DEP_3) | instskip(SKIP_2) | instid1(VALU_DEP_3)
	v_dual_fmac_f32 v86, 0xbf167918, v9 :: v_dual_mul_f32 v1, v3, v160
	v_mul_f32_e32 v3, v3, v159
	v_sub_f32_e32 v10, v25, v27
	v_dual_fmac_f32 v24, 0x3f167918, v9 :: v_dual_fmac_f32 v1, v2, v159
	s_delay_alu instid0(VALU_DEP_3) | instskip(SKIP_1) | instid1(VALU_DEP_2)
	v_fma_f32 v2, v2, v160, -v3
	v_sub_f32_e32 v3, v103, v102
	v_sub_f32_e32 v111, v0, v2
	s_delay_alu instid0(VALU_DEP_2) | instskip(SKIP_1) | instid1(VALU_DEP_2)
	v_dual_add_f32 v3, v3, v10 :: v_dual_add_f32 v10, v21, v120
	v_fma_f32 v21, -0.5, v87, v97
	v_dual_sub_f32 v87, v168, v120 :: v_dual_fmac_f32 v86, 0x3e9e377a, v3
	s_delay_alu instid0(VALU_DEP_3) | instskip(NEXT) | instid1(VALU_DEP_2)
	v_dual_fmac_f32 v24, 0x3e9e377a, v3 :: v_dual_add_f32 v9, v10, v106
	v_dual_add_f32 v3, v87, v88 :: v_dual_add_f32 v88, v29, v31
	v_add_f32_e32 v10, v168, v107
	s_delay_alu instid0(VALU_DEP_2) | instskip(NEXT) | instid1(VALU_DEP_2)
	v_fma_f32 v88, -0.5, v88, v98
	v_fma_f32 v25, -0.5, v10, v97
	v_sub_f32_e32 v10, v106, v107
	v_fmac_f32_e32 v22, 0xbf167918, v11
	v_fmac_f32_e32 v20, 0x3f167918, v11
	v_fmamk_f32 v90, v91, 0xbf737871, v88
	v_fmac_f32_e32 v88, 0x3f737871, v91
	v_sub_f32_e32 v11, v102, v27
	v_add_f32_e32 v27, v9, v107
	v_dual_sub_f32 v9, v120, v168 :: v_dual_fmac_f32 v22, 0x3e9e377a, v23
	v_dual_fmac_f32 v20, 0x3e9e377a, v23 :: v_dual_sub_f32 v97, v17, v16
	s_delay_alu instid0(VALU_DEP_2) | instskip(SKIP_4) | instid1(VALU_DEP_3)
	v_dual_add_f32 v9, v9, v10 :: v_dual_add_f32 v10, v98, v116
	v_fma_f32 v98, -0.5, v95, v98
	v_fmamk_f32 v23, v11, 0x3f737871, v21
	v_fmac_f32_e32 v21, 0xbf737871, v11
	v_add_f32_e32 v95, v30, v16
	v_fmac_f32_e32 v23, 0x3f167918, v89
	s_delay_alu instid0(VALU_DEP_3) | instskip(NEXT) | instid1(VALU_DEP_2)
	v_fmac_f32_e32 v21, 0xbf167918, v89
	v_fmac_f32_e32 v23, 0x3e9e377a, v3
	s_delay_alu instid0(VALU_DEP_2) | instskip(SKIP_1) | instid1(VALU_DEP_1)
	v_fmac_f32_e32 v21, 0x3e9e377a, v3
	v_add_f32_e32 v3, v10, v29
	v_dual_sub_f32 v10, v30, v16 :: v_dual_add_f32 v3, v3, v31
	s_delay_alu instid0(VALU_DEP_1)
	v_fmamk_f32 v96, v10, 0x3f737871, v98
	v_fmac_f32_e32 v88, 0x3f167918, v10
	v_fmac_f32_e32 v90, 0xbf167918, v10
	;; [unrolled: 1-line block ×3, first 2 shown]
	v_sub_f32_e32 v10, v116, v108
	v_fmac_f32_e32 v96, 0xbf167918, v91
	v_fmamk_f32 v87, v89, 0xbf737871, v25
	v_fmac_f32_e32 v25, 0x3f737871, v89
	v_sub_f32_e32 v89, v116, v29
	s_delay_alu instid0(VALU_DEP_3) | instskip(NEXT) | instid1(VALU_DEP_3)
	v_fmac_f32_e32 v87, 0x3f167918, v11
	v_fmac_f32_e32 v25, 0xbf167918, v11
	s_delay_alu instid0(VALU_DEP_3) | instskip(SKIP_1) | instid1(VALU_DEP_4)
	v_dual_add_f32 v11, v89, v94 :: v_dual_add_f32 v94, v3, v108
	v_sub_f32_e32 v3, v29, v116
	v_fmac_f32_e32 v87, 0x3e9e377a, v9
	s_delay_alu instid0(VALU_DEP_4) | instskip(SKIP_3) | instid1(VALU_DEP_3)
	v_fmac_f32_e32 v25, 0x3e9e377a, v9
	v_sub_f32_e32 v9, v31, v108
	v_dual_add_f32 v89, v99, v28 :: v_dual_fmac_f32 v90, 0x3e9e377a, v11
	v_dual_fmac_f32 v88, 0x3e9e377a, v11 :: v_dual_add_f32 v11, v28, v17
	v_add_f32_e32 v3, v3, v9
	s_delay_alu instid0(VALU_DEP_3)
	v_add_f32_e32 v9, v89, v30
	v_fma_f32 v89, -0.5, v95, v99
	v_sub_f32_e32 v29, v29, v31
	v_fmac_f32_e32 v99, -0.5, v11
	v_sub_f32_e32 v11, v16, v17
	v_add_f32_e32 v9, v9, v16
	v_add_f32_e32 v16, v13, v18
	v_dual_sub_f32 v31, v28, v30 :: v_dual_fmac_f32 v96, 0x3e9e377a, v3
	s_delay_alu instid0(VALU_DEP_3) | instskip(NEXT) | instid1(VALU_DEP_3)
	v_add_f32_e32 v95, v9, v17
	v_fma_f32 v100, -0.5, v16, v84
	v_dual_sub_f32 v16, v12, v109 :: v_dual_sub_f32 v9, v30, v28
	v_dual_add_f32 v28, v112, v19 :: v_dual_sub_f32 v17, v19, v18
	s_delay_alu instid0(VALU_DEP_2)
	v_fmamk_f32 v102, v16, 0xbf737871, v100
	v_fmac_f32_e32 v100, 0x3f737871, v16
	v_fmac_f32_e32 v98, 0x3f167918, v91
	v_fmamk_f32 v91, v10, 0x3f737871, v89
	v_fmac_f32_e32 v89, 0xbf737871, v10
	v_add_f32_e32 v9, v9, v11
	s_delay_alu instid0(VALU_DEP_4) | instskip(NEXT) | instid1(VALU_DEP_4)
	v_dual_add_f32 v11, v84, v112 :: v_dual_fmac_f32 v98, 0x3e9e377a, v3
	v_fmac_f32_e32 v91, 0x3f167918, v29
	v_add_f32_e32 v3, v31, v97
	v_fmac_f32_e32 v89, 0xbf167918, v29
	v_fmamk_f32 v97, v29, 0xbf737871, v99
	v_fmac_f32_e32 v99, 0x3f737871, v29
	v_fma_f32 v84, -0.5, v28, v84
	v_fmac_f32_e32 v91, 0x3e9e377a, v3
	v_fmac_f32_e32 v89, 0x3e9e377a, v3
	v_add_f32_e32 v3, v11, v13
	v_fmac_f32_e32 v97, 0x3f167918, v10
	v_dual_fmac_f32 v99, 0xbf167918, v10 :: v_dual_sub_f32 v10, v14, v15
	v_sub_f32_e32 v11, v112, v13
	s_delay_alu instid0(VALU_DEP_4) | instskip(NEXT) | instid1(VALU_DEP_4)
	v_add_f32_e32 v3, v3, v18
	v_fmac_f32_e32 v97, 0x3e9e377a, v9
	s_delay_alu instid0(VALU_DEP_4) | instskip(NEXT) | instid1(VALU_DEP_4)
	v_fmac_f32_e32 v99, 0x3e9e377a, v9
	v_dual_fmac_f32 v102, 0xbf167918, v10 :: v_dual_add_f32 v11, v11, v17
	v_fmac_f32_e32 v100, 0x3f167918, v10
	v_add_f32_e32 v104, v3, v19
	v_dual_fmamk_f32 v106, v10, 0x3f737871, v84 :: v_dual_sub_f32 v3, v13, v112
	v_dual_sub_f32 v9, v18, v19 :: v_dual_fmac_f32 v84, 0xbf737871, v10
	v_add_f32_e32 v10, v85, v12
	v_fmac_f32_e32 v102, 0x3e9e377a, v11
	v_fmac_f32_e32 v100, 0x3e9e377a, v11
	v_dual_add_f32 v11, v14, v15 :: v_dual_fmac_f32 v106, 0xbf167918, v16
	v_dual_add_f32 v3, v3, v9 :: v_dual_fmac_f32 v84, 0x3f167918, v16
	v_add_f32_e32 v9, v10, v14
	s_delay_alu instid0(VALU_DEP_3) | instskip(SKIP_1) | instid1(VALU_DEP_4)
	v_fma_f32 v101, -0.5, v11, v85
	v_sub_f32_e32 v16, v112, v19
	v_fmac_f32_e32 v106, 0x3e9e377a, v3
	v_fmac_f32_e32 v84, 0x3e9e377a, v3
	v_add_f32_e32 v3, v9, v15
	v_add_f32_e32 v9, v12, v109
	v_fmamk_f32 v103, v16, 0x3f737871, v101
	v_sub_f32_e32 v13, v13, v18
	v_dual_sub_f32 v10, v12, v14 :: v_dual_sub_f32 v11, v109, v15
	s_delay_alu instid0(VALU_DEP_4)
	v_fmac_f32_e32 v85, -0.5, v9
	v_fmac_f32_e32 v101, 0xbf737871, v16
	v_add_f32_e32 v105, v3, v109
	v_fmac_f32_e32 v103, 0x3f167918, v13
	v_add_f32_e32 v3, v10, v11
	v_fmamk_f32 v107, v13, 0xbf737871, v85
	v_dual_sub_f32 v9, v14, v12 :: v_dual_sub_f32 v10, v15, v109
	v_fmac_f32_e32 v101, 0xbf167918, v13
	v_fmac_f32_e32 v85, 0x3f737871, v13
	v_dual_sub_f32 v12, v4, v5 :: v_dual_sub_f32 v13, v1, v7
	v_add_f32_e32 v11, v5, v7
	v_dual_add_f32 v108, v9, v10 :: v_dual_add_f32 v9, v4, v1
	s_delay_alu instid0(VALU_DEP_3)
	v_dual_add_f32 v15, v6, v0 :: v_dual_add_f32 v14, v12, v13
	v_dual_add_f32 v12, v8, v2 :: v_dual_fmac_f32 v103, 0x3e9e377a, v3
	v_fmac_f32_e32 v107, 0x3f167918, v16
	v_fmac_f32_e32 v101, 0x3e9e377a, v3
	v_fma_f32 v3, -0.5, v11, v92
	v_dual_sub_f32 v10, v8, v2 :: v_dual_sub_f32 v11, v6, v0
	v_fma_f32 v9, -0.5, v9, v92
	v_fmac_f32_e32 v85, 0xbf167918, v16
	v_fma_f32 v13, -0.5, v15, v93
	v_dual_sub_f32 v16, v4, v1 :: v_dual_sub_f32 v15, v5, v7
	v_fma_f32 v17, -0.5, v12, v93
	v_fmamk_f32 v28, v10, 0xbf737871, v3
	v_fmamk_f32 v30, v11, 0x3f737871, v9
	v_sub_f32_e32 v18, v5, v4
	v_dual_sub_f32 v12, v7, v1 :: v_dual_fmamk_f32 v29, v16, 0x3f737871, v13
	v_sub_f32_e32 v19, v8, v6
	v_sub_f32_e32 v109, v2, v0
	v_fmamk_f32 v31, v15, 0xbf737871, v17
	v_fmac_f32_e32 v28, 0xbf167918, v11
	v_fmac_f32_e32 v30, 0xbf167918, v10
	v_dual_add_f32 v12, v18, v12 :: v_dual_fmac_f32 v29, 0x3f167918, v15
	v_add_f32_e32 v19, v19, v109
	v_dual_fmac_f32 v31, 0x3f167918, v16 :: v_dual_add_f32 v18, v110, v111
	s_delay_alu instid0(VALU_DEP_3) | instskip(NEXT) | instid1(VALU_DEP_3)
	v_fmac_f32_e32 v30, 0x3e9e377a, v12
	v_dual_fmac_f32 v28, 0x3e9e377a, v14 :: v_dual_fmac_f32 v29, 0x3e9e377a, v19
	v_fmac_f32_e32 v107, 0x3e9e377a, v108
	s_delay_alu instid0(VALU_DEP_4)
	v_fmac_f32_e32 v31, 0x3e9e377a, v18
	v_fmac_f32_e32 v85, 0x3e9e377a, v108
	ds_store_2addr_b64 v167, v[26:27], v[22:23] offset1:5
	ds_store_2addr_b64 v167, v[86:87], v[24:25] offset0:10 offset1:15
	ds_store_b64 v167, v[20:21] offset:160
	ds_store_2addr_b64 v166, v[94:95], v[90:91] offset1:5
	ds_store_2addr_b64 v166, v[96:97], v[98:99] offset0:10 offset1:15
	ds_store_b64 v166, v[88:89] offset:160
	;; [unrolled: 3-line block ×3, first 2 shown]
	s_and_saveexec_b32 s1, vcc_lo
	s_cbranch_execz .LBB0_25
; %bb.24:
	v_dual_mul_f32 v22, 0x3f737871, v15 :: v_dual_mul_f32 v23, 0x3f737871, v16
	v_mul_f32_e32 v14, 0x3e9e377a, v14
	v_dual_mul_f32 v16, 0x3f167918, v16 :: v_dual_mul_f32 v15, 0x3f167918, v15
	s_delay_alu instid0(VALU_DEP_3) | instskip(NEXT) | instid1(VALU_DEP_4)
	v_add_f32_e32 v17, v22, v17
	v_dual_sub_f32 v13, v13, v23 :: v_dual_mul_f32 v12, 0x3e9e377a, v12
	v_dual_mul_f32 v19, 0x3e9e377a, v19 :: v_dual_mul_f32 v18, 0x3e9e377a, v18
	s_delay_alu instid0(VALU_DEP_3) | instskip(SKIP_1) | instid1(VALU_DEP_4)
	v_sub_f32_e32 v16, v17, v16
	v_add_f32_e32 v8, v93, v8
	v_sub_f32_e32 v13, v13, v15
	v_dual_add_f32 v17, v92, v4 :: v_dual_mul_f32 v20, 0x3f737871, v10
	v_dual_mul_f32 v21, 0x3f167918, v11 :: v_dual_mul_f32 v10, 0x3f167918, v10
	s_delay_alu instid0(VALU_DEP_4) | instskip(NEXT) | instid1(VALU_DEP_4)
	v_dual_mul_f32 v11, 0x3f737871, v11 :: v_dual_add_f32 v8, v8, v6
	v_add_f32_e32 v6, v19, v13
	s_delay_alu instid0(VALU_DEP_4) | instskip(NEXT) | instid1(VALU_DEP_3)
	v_add_f32_e32 v5, v17, v5
	v_dual_sub_f32 v9, v9, v11 :: v_dual_add_f32 v0, v8, v0
	v_add_f32_e32 v3, v3, v20
	s_delay_alu instid0(VALU_DEP_3) | instskip(SKIP_1) | instid1(VALU_DEP_4)
	v_add_f32_e32 v5, v5, v7
	v_and_b32_e32 v7, 0xffff, v173
	v_add_f32_e32 v8, v10, v9
	s_delay_alu instid0(VALU_DEP_4) | instskip(NEXT) | instid1(VALU_DEP_4)
	v_dual_add_f32 v2, v0, v2 :: v_dual_add_f32 v9, v21, v3
	v_add_f32_e32 v1, v5, v1
	s_delay_alu instid0(VALU_DEP_4)
	v_lshl_add_u32 v0, v7, 3, v163
	v_add_f32_e32 v4, v18, v16
	v_add_f32_e32 v3, v12, v8
	;; [unrolled: 1-line block ×3, first 2 shown]
	ds_store_2addr_b64 v0, v[1:2], v[28:29] offset1:5
	ds_store_2addr_b64 v0, v[30:31], v[3:4] offset0:10 offset1:15
	ds_store_b64 v0, v[5:6] offset:160
.LBB0_25:
	s_wait_alu 0xfffe
	s_or_b32 exec_lo, exec_lo, s1
	global_wb scope:SCOPE_SE
	s_wait_dscnt 0x0
	s_barrier_signal -1
	s_barrier_wait -1
	global_inv scope:SCOPE_SE
	ds_load_2addr_b64 v[0:3], v161 offset1:75
	ds_load_2addr_b64 v[4:7], v161 offset0:150 offset1:225
	v_add_nc_u32_e32 v88, 0x800, v161
	v_add_nc_u32_e32 v89, 0xc00, v161
	;; [unrolled: 1-line block ×5, first 2 shown]
	s_wait_dscnt 0x1
	v_mul_f32_e32 v92, v61, v3
	v_mul_f32_e32 v61, v61, v2
	ds_load_2addr_b64 v[8:11], v88 offset0:44 offset1:119
	s_wait_dscnt 0x1
	v_mul_f32_e32 v93, v63, v5
	v_dual_mul_f32 v63, v63, v4 :: v_dual_fmac_f32 v92, v60, v2
	v_add_nc_u32_e32 v20, 0x1400, v161
	s_delay_alu instid0(VALU_DEP_3)
	v_dual_mul_f32 v94, v53, v7 :: v_dual_fmac_f32 v93, v62, v4
	v_fma_f32 v2, v60, v3, -v61
	v_mul_f32_e32 v3, v53, v6
	ds_load_2addr_b64 v[12:15], v89 offset0:66 offset1:141
	ds_load_2addr_b64 v[16:19], v90 offset0:88 offset1:163
	;; [unrolled: 1-line block ×5, first 2 shown]
	v_fma_f32 v4, v62, v5, -v63
	v_fmac_f32_e32 v94, v52, v6
	global_wb scope:SCOPE_SE
	s_wait_dscnt 0x0
	v_fma_f32 v3, v52, v7, -v3
	s_barrier_signal -1
	s_barrier_wait -1
	global_inv scope:SCOPE_SE
	v_mul_f32_e32 v5, v55, v9
	v_dual_mul_f32 v6, v55, v8 :: v_dual_mul_f32 v7, v41, v11
	v_mul_f32_e32 v41, v41, v10
	s_delay_alu instid0(VALU_DEP_3) | instskip(NEXT) | instid1(VALU_DEP_3)
	v_dual_fmac_f32 v5, v54, v8 :: v_dual_mul_f32 v8, v43, v13
	v_fma_f32 v6, v54, v9, -v6
	s_delay_alu instid0(VALU_DEP_4) | instskip(NEXT) | instid1(VALU_DEP_4)
	v_dual_fmac_f32 v7, v40, v10 :: v_dual_mul_f32 v10, v43, v12
	v_fma_f32 v9, v40, v11, -v41
	s_delay_alu instid0(VALU_DEP_4) | instskip(SKIP_1) | instid1(VALU_DEP_4)
	v_dual_mul_f32 v11, v33, v15 :: v_dual_fmac_f32 v8, v42, v12
	v_dual_mul_f32 v12, v33, v14 :: v_dual_mul_f32 v33, v35, v17
	v_fma_f32 v10, v42, v13, -v10
	s_delay_alu instid0(VALU_DEP_3) | instskip(SKIP_1) | instid1(VALU_DEP_4)
	v_dual_fmac_f32 v11, v32, v14 :: v_dual_mul_f32 v14, v57, v19
	v_mul_f32_e32 v13, v35, v16
	v_fma_f32 v12, v32, v15, -v12
	v_dual_fmac_f32 v33, v34, v16 :: v_dual_mul_f32 v16, v59, v21
	v_mul_f32_e32 v15, v57, v18
	v_fmac_f32_e32 v14, v56, v18
	v_fma_f32 v13, v34, v17, -v13
	v_mul_f32_e32 v18, v45, v23
	v_fmac_f32_e32 v16, v58, v20
	v_mul_f32_e32 v17, v59, v20
	v_fma_f32 v15, v56, v19, -v15
	v_dual_mul_f32 v19, v45, v22 :: v_dual_mul_f32 v20, v47, v25
	v_fmac_f32_e32 v18, v44, v22
	s_delay_alu instid0(VALU_DEP_4) | instskip(SKIP_1) | instid1(VALU_DEP_4)
	v_fma_f32 v17, v58, v21, -v17
	v_dual_mul_f32 v21, v47, v24 :: v_dual_mul_f32 v22, v37, v27
	v_fma_f32 v19, v44, v23, -v19
	v_dual_fmac_f32 v20, v46, v24 :: v_dual_mul_f32 v23, v37, v26
	s_delay_alu instid0(VALU_DEP_3) | instskip(NEXT) | instid1(VALU_DEP_4)
	v_fma_f32 v21, v46, v25, -v21
	v_dual_fmac_f32 v22, v36, v26 :: v_dual_mul_f32 v25, v39, v84
	v_mul_f32_e32 v24, v39, v85
	s_delay_alu instid0(VALU_DEP_4) | instskip(SKIP_2) | instid1(VALU_DEP_4)
	v_fma_f32 v23, v36, v27, -v23
	v_mul_f32_e32 v27, v158, v86
	v_dual_mul_f32 v26, v158, v87 :: v_dual_sub_f32 v13, v1, v13
	v_dual_fmac_f32 v24, v38, v84 :: v_dual_sub_f32 v17, v4, v17
	v_fma_f32 v25, v38, v85, -v25
	s_delay_alu instid0(VALU_DEP_4)
	v_fma_f32 v27, v157, v87, -v27
	v_sub_f32_e32 v22, v7, v22
	v_dual_sub_f32 v32, v0, v33 :: v_dual_sub_f32 v15, v2, v15
	v_dual_fmac_f32 v26, v157, v86 :: v_dual_sub_f32 v21, v6, v21
	v_dual_sub_f32 v20, v5, v20 :: v_dual_sub_f32 v25, v10, v25
	v_dual_sub_f32 v16, v93, v16 :: v_dual_sub_f32 v19, v3, v19
	;; [unrolled: 1-line block ×3, first 2 shown]
	v_sub_f32_e32 v27, v12, v27
	v_fma_f32 v7, v7, 2.0, -v22
	v_sub_f32_e32 v14, v92, v14
	v_fma_f32 v0, v0, 2.0, -v32
	v_fma_f32 v1, v1, 2.0, -v13
	;; [unrolled: 1-line block ×10, first 2 shown]
	v_dual_sub_f32 v18, v94, v18 :: v_dual_sub_f32 v5, v0, v5
	v_dual_sub_f32 v26, v11, v26 :: v_dual_add_f32 v21, v32, v21
	v_fma_f32 v9, v9, 2.0, -v23
	v_fma_f32 v3, v3, 2.0, -v19
	v_fma_f32 v12, v12, 2.0, -v27
	v_fma_f32 v35, v94, 2.0, -v18
	v_fma_f32 v11, v11, 2.0, -v26
	v_dual_sub_f32 v6, v1, v6 :: v_dual_add_f32 v25, v16, v25
	v_dual_sub_f32 v20, v13, v20 :: v_dual_sub_f32 v9, v2, v9
	s_delay_alu instid0(VALU_DEP_3)
	v_dual_sub_f32 v10, v4, v10 :: v_dual_sub_f32 v11, v35, v11
	v_dual_sub_f32 v24, v17, v24 :: v_dual_add_f32 v27, v18, v27
	v_dual_sub_f32 v7, v34, v7 :: v_dual_sub_f32 v8, v33, v8
	v_dual_add_f32 v23, v14, v23 :: v_dual_sub_f32 v12, v3, v12
	v_fmamk_f32 v39, v25, 0x3f3504f3, v21
	v_fma_f32 v0, v0, 2.0, -v5
	v_fma_f32 v1, v1, 2.0, -v6
	;; [unrolled: 1-line block ×6, first 2 shown]
	v_sub_f32_e32 v22, v15, v22
	v_fma_f32 v2, v2, 2.0, -v9
	v_sub_f32_e32 v33, v0, v33
	v_fma_f32 v3, v3, 2.0, -v12
	v_dual_sub_f32 v26, v19, v26 :: v_dual_sub_f32 v37, v1, v4
	v_fma_f32 v32, v32, 2.0, -v21
	v_fma_f32 v16, v16, 2.0, -v25
	;; [unrolled: 1-line block ×7, first 2 shown]
	v_fmamk_f32 v38, v17, 0xbf3504f3, v13
	v_fma_f32 v4, v19, 2.0, -v26
	v_dual_add_f32 v40, v5, v10 :: v_dual_sub_f32 v43, v2, v3
	v_fmamk_f32 v42, v24, 0x3f3504f3, v20
	v_dual_fmamk_f32 v36, v16, 0xbf3504f3, v32 :: v_dual_sub_f32 v41, v6, v8
	v_fma_f32 v19, v1, 2.0, -v37
	s_delay_alu instid0(VALU_DEP_3)
	v_dual_sub_f32 v35, v34, v35 :: v_dual_fmac_f32 v42, 0xbf3504f3, v25
	v_add_f32_e32 v45, v7, v12
	v_fmamk_f32 v25, v18, 0xbf3504f3, v14
	v_fmac_f32_e32 v38, 0xbf3504f3, v16
	v_fma_f32 v1, v2, 2.0, -v43
	v_fmamk_f32 v44, v4, 0xbf3504f3, v15
	v_dual_fmac_f32 v36, 0x3f3504f3, v17 :: v_dual_fmac_f32 v39, 0x3f3504f3, v24
	v_fma_f32 v17, v0, 2.0, -v33
	v_fma_f32 v0, v34, 2.0, -v35
	v_dual_fmamk_f32 v34, v27, 0x3f3504f3, v23 :: v_dual_fmamk_f32 v47, v26, 0x3f3504f3, v22
	v_dual_sub_f32 v1, v19, v1 :: v_dual_fmac_f32 v44, 0xbf3504f3, v18
	v_fma_f32 v16, v32, 2.0, -v36
	v_fma_f32 v13, v13, 2.0, -v38
	s_delay_alu instid0(VALU_DEP_4)
	v_fmac_f32_e32 v47, 0xbf3504f3, v27
	v_fma_f32 v32, v6, 2.0, -v41
	v_fma_f32 v6, v15, 2.0, -v44
	v_dual_sub_f32 v46, v9, v11 :: v_dual_fmac_f32 v25, 0x3f3504f3, v4
	v_fmac_f32_e32 v34, 0x3f3504f3, v26
	v_fma_f32 v11, v7, 2.0, -v45
	s_delay_alu instid0(VALU_DEP_4) | instskip(NEXT) | instid1(VALU_DEP_4)
	v_fmamk_f32 v3, v6, 0xbf6c835e, v13
	v_fma_f32 v9, v9, 2.0, -v46
	v_fma_f32 v8, v14, 2.0, -v25
	v_fma_f32 v24, v5, 2.0, -v40
	v_fma_f32 v21, v21, 2.0, -v39
	v_fma_f32 v20, v20, 2.0, -v42
	v_fmamk_f32 v7, v9, 0xbf3504f3, v32
	v_sub_f32_e32 v0, v17, v0
	v_fma_f32 v12, v22, 2.0, -v47
	v_fmamk_f32 v22, v45, 0x3f3504f3, v40
	v_fmac_f32_e32 v3, 0xbec3ef15, v8
	v_fmac_f32_e32 v7, 0xbf3504f3, v11
	v_fma_f32 v4, v17, 2.0, -v0
	v_sub_f32_e32 v17, v37, v35
	v_fma_f32 v14, v23, 2.0, -v34
	v_fmamk_f32 v2, v8, 0xbf6c835e, v16
	v_fmamk_f32 v23, v46, 0x3f3504f3, v41
	v_fma_f32 v5, v19, 2.0, -v1
	v_fmamk_f32 v18, v25, 0x3ec3ef15, v36
	v_fmamk_f32 v8, v14, 0xbec3ef15, v21
	v_fmac_f32_e32 v2, 0x3ec3ef15, v6
	v_dual_fmamk_f32 v6, v11, 0xbf3504f3, v24 :: v_dual_fmac_f32 v23, 0xbf3504f3, v45
	v_fmamk_f32 v19, v44, 0x3ec3ef15, v38
	v_fmac_f32_e32 v18, 0x3f6c835e, v44
	s_delay_alu instid0(VALU_DEP_4) | instskip(NEXT) | instid1(VALU_DEP_4)
	v_fma_f32 v10, v16, 2.0, -v2
	v_fmac_f32_e32 v6, 0x3f3504f3, v9
	v_dual_fmamk_f32 v9, v12, 0xbec3ef15, v20 :: v_dual_add_f32 v16, v33, v43
	v_fma_f32 v11, v13, 2.0, -v3
	v_fma_f32 v13, v32, 2.0, -v7
	v_fmamk_f32 v32, v34, 0x3f6c835e, v39
	s_delay_alu instid0(VALU_DEP_4)
	v_fmac_f32_e32 v9, 0xbf6c835e, v14
	v_fmac_f32_e32 v8, 0x3f6c835e, v12
	;; [unrolled: 1-line block ×4, first 2 shown]
	v_fma_f32 v12, v24, 2.0, -v6
	v_fma_f32 v15, v20, 2.0, -v9
	;; [unrolled: 1-line block ×3, first 2 shown]
	v_fmamk_f32 v33, v47, 0x3f6c835e, v42
	v_fmac_f32_e32 v32, 0x3ec3ef15, v47
	v_fma_f32 v14, v21, 2.0, -v8
	v_fma_f32 v21, v37, 2.0, -v17
	;; [unrolled: 1-line block ×3, first 2 shown]
	v_fmac_f32_e32 v33, 0xbec3ef15, v34
	v_fma_f32 v25, v38, 2.0, -v19
	v_fma_f32 v26, v40, 2.0, -v22
	;; [unrolled: 1-line block ×5, first 2 shown]
	ds_store_2addr_b64 v172, v[4:5], v[10:11] offset1:25
	ds_store_2addr_b64 v172, v[12:13], v[14:15] offset0:50 offset1:75
	v_add_nc_u32_e32 v4, 0x400, v172
	v_add_nc_u32_e32 v5, 0x800, v172
	;; [unrolled: 1-line block ×3, first 2 shown]
	ds_store_2addr_b64 v172, v[20:21], v[24:25] offset0:100 offset1:125
	ds_store_2addr_b64 v172, v[26:27], v[34:35] offset0:150 offset1:175
	;; [unrolled: 1-line block ×6, first 2 shown]
	global_wb scope:SCOPE_SE
	s_wait_dscnt 0x0
	s_barrier_signal -1
	s_barrier_wait -1
	global_inv scope:SCOPE_SE
	ds_load_2addr_b64 v[4:7], v161 offset1:75
	ds_load_2addr_b64 v[0:3], v88 offset0:44 offset1:144
	ds_load_2addr_b64 v[24:27], v91 offset0:32 offset1:107
	;; [unrolled: 1-line block ×6, first 2 shown]
	ds_load_b64 v[34:35], v161 offset:8800
	v_add_nc_u32_e32 v38, 0x4b0, v161
	v_add_nc_u32_e32 v37, 0x708, v161
	;; [unrolled: 1-line block ×3, first 2 shown]
	s_and_saveexec_b32 s1, s0
	s_cbranch_execz .LBB0_27
; %bb.26:
	ds_load_b64 v[32:33], v161 offset:3000
	ds_load_b64 v[28:29], v161 offset:6200
	ds_load_b64 v[30:31], v161 offset:9400
.LBB0_27:
	s_wait_alu 0xfffe
	s_or_b32 exec_lo, exec_lo, s1
	s_wait_dscnt 0x5
	v_dual_mul_f32 v39, v81, v3 :: v_dual_mul_f32 v42, v83, v24
	v_dual_mul_f32 v40, v81, v2 :: v_dual_mul_f32 v41, v83, v25
	s_wait_dscnt 0x2
	v_mul_f32_e32 v43, v71, v19
	s_delay_alu instid0(VALU_DEP_3) | instskip(NEXT) | instid1(VALU_DEP_3)
	v_dual_fmac_f32 v39, v80, v2 :: v_dual_mul_f32 v2, v77, v20
	v_fma_f32 v3, v80, v3, -v40
	v_dual_mul_f32 v40, v77, v21 :: v_dual_fmac_f32 v41, v82, v24
	v_fma_f32 v24, v82, v25, -v42
	v_mul_f32_e32 v25, v79, v27
	v_fma_f32 v21, v76, v21, -v2
	s_delay_alu instid0(VALU_DEP_4)
	v_fmac_f32_e32 v40, v76, v20
	v_mul_f32_e32 v20, v79, v26
	v_mul_f32_e32 v2, v73, v22
	v_dual_fmac_f32 v25, v78, v26 :: v_dual_mul_f32 v26, v75, v17
	s_wait_dscnt 0x1
	v_mul_f32_e32 v45, v65, v15
	v_fma_f32 v20, v78, v27, -v20
	v_mul_f32_e32 v27, v69, v13
	s_wait_dscnt 0x0
	v_dual_mul_f32 v47, v67, v35 :: v_dual_fmac_f32 v26, v74, v16
	v_mul_f32_e32 v42, v73, v23
	v_fma_f32 v23, v72, v23, -v2
	v_fmac_f32_e32 v27, v68, v12
	v_dual_mul_f32 v2, v69, v12 :: v_dual_fmac_f32 v45, v64, v14
	v_mul_f32_e32 v12, v71, v18
	v_fmac_f32_e32 v42, v72, v22
	v_fmac_f32_e32 v47, v66, v34
	s_delay_alu instid0(VALU_DEP_4) | instskip(SKIP_4) | instid1(VALU_DEP_4)
	v_fma_f32 v44, v68, v13, -v2
	v_dual_mul_f32 v2, v65, v14 :: v_dual_add_f32 v13, v4, v39
	v_fma_f32 v46, v70, v19, -v12
	v_mul_f32_e32 v12, v67, v34
	v_sub_f32_e32 v14, v3, v24
	v_fma_f32 v52, v64, v15, -v2
	v_add_f32_e32 v2, v39, v41
	v_sub_f32_e32 v15, v39, v41
	v_dual_mul_f32 v22, v75, v16 :: v_dual_fmac_f32 v43, v70, v18
	v_add_f32_e32 v18, v7, v21
	s_delay_alu instid0(VALU_DEP_4)
	v_fma_f32 v2, -0.5, v2, v4
	v_add_f32_e32 v4, v13, v41
	v_add_f32_e32 v13, v5, v3
	v_fma_f32 v35, v66, v35, -v12
	v_add_f32_e32 v12, v3, v24
	v_fma_f32 v22, v74, v17, -v22
	v_sub_f32_e32 v17, v21, v20
	v_sub_f32_e32 v19, v40, v25
	v_add_f32_e32 v39, v1, v52
	v_fma_f32 v3, -0.5, v12, v5
	v_dual_add_f32 v5, v13, v24 :: v_dual_sub_f32 v24, v42, v26
	s_delay_alu instid0(VALU_DEP_2) | instskip(SKIP_2) | instid1(VALU_DEP_1)
	v_dual_add_f32 v34, v0, v45 :: v_dual_fmamk_f32 v13, v15, 0x3f5db3d7, v3
	v_fmac_f32_e32 v3, 0xbf5db3d7, v15
	v_add_f32_e32 v15, v21, v20
	v_dual_fmac_f32 v7, -0.5, v15 :: v_dual_fmamk_f32 v12, v14, 0xbf5db3d7, v2
	v_fmac_f32_e32 v2, 0x3f5db3d7, v14
	v_add_f32_e32 v14, v40, v25
	v_add_f32_e32 v16, v6, v40
	v_sub_f32_e32 v40, v45, v47
	s_delay_alu instid0(VALU_DEP_3) | instskip(NEXT) | instid1(VALU_DEP_3)
	v_fma_f32 v6, -0.5, v14, v6
	v_add_f32_e32 v14, v16, v25
	v_sub_f32_e32 v25, v44, v46
	s_delay_alu instid0(VALU_DEP_3)
	v_dual_sub_f32 v21, v23, v22 :: v_dual_fmamk_f32 v16, v17, 0xbf5db3d7, v6
	v_dual_fmac_f32 v6, 0x3f5db3d7, v17 :: v_dual_fmamk_f32 v17, v19, 0x3f5db3d7, v7
	v_fmac_f32_e32 v7, 0xbf5db3d7, v19
	v_add_f32_e32 v19, v23, v22
	v_add_f32_e32 v15, v18, v20
	v_dual_add_f32 v18, v42, v26 :: v_dual_add_f32 v23, v9, v23
	v_add_f32_e32 v20, v8, v42
	s_delay_alu instid0(VALU_DEP_4) | instskip(NEXT) | instid1(VALU_DEP_3)
	v_fma_f32 v9, -0.5, v19, v9
	v_fma_f32 v8, -0.5, v18, v8
	s_delay_alu instid0(VALU_DEP_4) | instskip(SKIP_2) | instid1(VALU_DEP_2)
	v_add_f32_e32 v19, v23, v22
	v_add_f32_e32 v22, v27, v43
	;; [unrolled: 1-line block ×3, first 2 shown]
	v_fma_f32 v10, -0.5, v22, v10
	s_delay_alu instid0(VALU_DEP_2)
	v_add_f32_e32 v22, v23, v43
	v_dual_add_f32 v23, v11, v44 :: v_dual_add_f32 v18, v20, v26
	v_fmamk_f32 v20, v21, 0xbf5db3d7, v8
	v_dual_fmac_f32 v8, 0x3f5db3d7, v21 :: v_dual_fmamk_f32 v21, v24, 0x3f5db3d7, v9
	v_dual_fmac_f32 v9, 0xbf5db3d7, v24 :: v_dual_add_f32 v24, v44, v46
	v_sub_f32_e32 v26, v27, v43
	v_add_f32_e32 v27, v45, v47
	v_add_f32_e32 v23, v23, v46
	s_delay_alu instid0(VALU_DEP_4) | instskip(SKIP_1) | instid1(VALU_DEP_4)
	v_dual_fmac_f32 v11, -0.5, v24 :: v_dual_fmamk_f32 v24, v25, 0xbf5db3d7, v10
	v_fmac_f32_e32 v10, 0x3f5db3d7, v25
	v_fma_f32 v0, -0.5, v27, v0
	v_sub_f32_e32 v27, v52, v35
	s_delay_alu instid0(VALU_DEP_4) | instskip(SKIP_1) | instid1(VALU_DEP_1)
	v_fmamk_f32 v25, v26, 0x3f5db3d7, v11
	v_dual_fmac_f32 v11, 0xbf5db3d7, v26 :: v_dual_add_f32 v26, v52, v35
	v_dual_fmac_f32 v1, -0.5, v26 :: v_dual_add_f32 v26, v34, v47
	s_delay_alu instid0(VALU_DEP_4) | instskip(SKIP_2) | instid1(VALU_DEP_4)
	v_fmamk_f32 v34, v27, 0xbf5db3d7, v0
	v_fmac_f32_e32 v0, 0x3f5db3d7, v27
	v_add_f32_e32 v27, v39, v35
	v_fmamk_f32 v35, v40, 0x3f5db3d7, v1
	v_fmac_f32_e32 v1, 0xbf5db3d7, v40
	ds_store_b64 v161, v[4:5]
	ds_store_b64 v164, v[12:13] offset:3200
	ds_store_b64 v164, v[2:3] offset:6400
	;; [unrolled: 1-line block ×14, first 2 shown]
	s_and_saveexec_b32 s1, s0
	s_cbranch_execz .LBB0_29
; %bb.28:
	v_dual_mul_f32 v0, v49, v28 :: v_dual_mul_f32 v1, v51, v30
	s_delay_alu instid0(VALU_DEP_1) | instskip(SKIP_1) | instid1(VALU_DEP_3)
	v_fma_f32 v0, v48, v29, -v0
	v_mul_f32_e32 v4, v51, v31
	v_fma_f32 v3, v50, v31, -v1
	v_mul_f32_e32 v2, v49, v29
	s_delay_alu instid0(VALU_DEP_3) | instskip(NEXT) | instid1(VALU_DEP_3)
	v_dual_add_f32 v7, v33, v0 :: v_dual_fmac_f32 v4, v50, v30
	v_add_f32_e32 v1, v0, v3
	s_delay_alu instid0(VALU_DEP_3) | instskip(NEXT) | instid1(VALU_DEP_2)
	v_fmac_f32_e32 v2, v48, v28
	v_fma_f32 v1, -0.5, v1, v33
	v_sub_f32_e32 v8, v0, v3
	v_add_f32_e32 v3, v7, v3
	s_delay_alu instid0(VALU_DEP_4) | instskip(SKIP_2) | instid1(VALU_DEP_3)
	v_add_f32_e32 v5, v2, v4
	v_sub_f32_e32 v6, v2, v4
	v_add_f32_e32 v2, v32, v2
	v_fma_f32 v0, -0.5, v5, v32
	s_delay_alu instid0(VALU_DEP_3) | instskip(NEXT) | instid1(VALU_DEP_3)
	v_fmamk_f32 v5, v6, 0xbf5db3d7, v1
	v_dual_add_f32 v2, v2, v4 :: v_dual_fmac_f32 v1, 0x3f5db3d7, v6
	s_delay_alu instid0(VALU_DEP_3)
	v_fmamk_f32 v4, v8, 0x3f5db3d7, v0
	v_fmac_f32_e32 v0, 0xbf5db3d7, v8
	ds_store_b64 v161, v[2:3] offset:3000
	ds_store_b64 v161, v[0:1] offset:6200
	;; [unrolled: 1-line block ×3, first 2 shown]
.LBB0_29:
	s_wait_alu 0xfffe
	s_or_b32 exec_lo, exec_lo, s1
	global_wb scope:SCOPE_SE
	s_wait_dscnt 0x0
	s_barrier_signal -1
	s_barrier_wait -1
	global_inv scope:SCOPE_SE
	ds_load_2addr_b64 v[0:3], v161 offset1:75
	ds_load_2addr_b64 v[4:7], v161 offset0:150 offset1:240
	v_add_nc_u32_e32 v8, 0xc00, v161
	v_add_nc_u32_e32 v12, 0x1000, v161
	v_mad_co_u64_u32 v[36:37], null, s6, v126, 0
	v_mad_co_u64_u32 v[38:39], null, s4, v162, 0
	s_mov_b32 s2, 0xb4e81b4f
	s_mov_b32 s3, 0x3f4b4e81
	s_mul_u64 s[0:1], s[4:5], 0xf0
	s_wait_alu 0xfffe
	s_lshl_b64 s[10:11], s[0:1], 3
	s_wait_dscnt 0x1
	v_mul_f32_e32 v21, v150, v0
	s_wait_dscnt 0x0
	v_mul_f32_e32 v23, v152, v6
	ds_load_2addr_b64 v[8:11], v8 offset0:96 offset1:171
	ds_load_2addr_b64 v[12:15], v12 offset0:118 offset1:208
	v_add_nc_u32_e32 v16, 0x1c00, v161
	v_mul_f32_e32 v22, v152, v7
	v_fma_f32 v21, v149, v1, -v21
	s_delay_alu instid0(VALU_DEP_2) | instskip(SKIP_1) | instid1(VALU_DEP_3)
	v_dual_mul_f32 v43, v144, v3 :: v_dual_fmac_f32 v22, v151, v6
	v_fma_f32 v6, v151, v7, -v23
	v_cvt_f64_f32_e32 v[24:25], v21
	v_add_nc_u32_e32 v21, 0x1800, v161
	s_delay_alu instid0(VALU_DEP_4)
	v_fmac_f32_e32 v43, v143, v2
	s_wait_dscnt 0x1
	v_mul_f32_e32 v23, v154, v8
	ds_load_2addr_b64 v[16:19], v16 offset0:64 offset1:139
	v_mul_f32_e32 v7, v154, v9
	v_mul_f32_e32 v20, v150, v1
	s_wait_dscnt 0x1
	v_mul_f32_e32 v32, v156, v15
	v_mul_f32_e32 v46, v138, v11
	;; [unrolled: 1-line block ×3, first 2 shown]
	v_fmac_f32_e32 v7, v153, v8
	v_fmac_f32_e32 v20, v149, v0
	v_fma_f32 v8, v153, v9, -v23
	s_delay_alu instid0(VALU_DEP_4) | instskip(NEXT) | instid1(VALU_DEP_3)
	v_fma_f32 v47, v137, v11, -v47
	v_cvt_f64_f32_e32 v[0:1], v20
	v_dual_mov_b32 v20, v37 :: v_dual_mov_b32 v37, v39
	v_fmac_f32_e32 v32, v155, v14
	v_cvt_f64_f32_e32 v[30:31], v8
	s_delay_alu instid0(VALU_DEP_3) | instskip(NEXT) | instid1(VALU_DEP_4)
	v_mad_co_u64_u32 v[39:40], null, s7, v126, v[20:21]
	v_mad_co_u64_u32 v[40:41], null, s5, v162, v[37:38]
	s_delay_alu instid0(VALU_DEP_4)
	v_cvt_f64_f32_e32 v[32:33], v32
	s_wait_dscnt 0x0
	v_mul_f32_e32 v41, v148, v17
	v_cvt_f64_f32_e32 v[26:27], v22
	v_dual_mul_f32 v28, v156, v14 :: v_dual_mov_b32 v37, v39
	v_mul_f64_e32 v[24:25], s[2:3], v[24:25]
	ds_load_2addr_b64 v[20:23], v21 offset0:27 offset1:102
	v_fmac_f32_e32 v41, v147, v16
	v_fma_f32 v9, v155, v15, -v28
	v_cvt_f64_f32_e32 v[14:15], v6
	v_cvt_f64_f32_e32 v[28:29], v7
	v_add_nc_u32_e32 v6, 0x800, v161
	v_mul_f32_e32 v42, v148, v16
	v_cvt_f64_f32_e32 v[34:35], v9
	v_mul_f32_e32 v44, v144, v2
	v_mov_b32_e32 v39, v40
	ds_load_2addr_b64 v[6:9], v6 offset0:59 offset1:134
	v_fma_f32 v16, v147, v17, -v42
	v_lshlrev_b64_e32 v[36:37], 3, v[36:37]
	v_mul_f32_e32 v50, v140, v19
	v_lshlrev_b64_e32 v[38:39], 3, v[38:39]
	v_mul_f32_e32 v51, v140, v18
	v_cvt_f64_f32_e32 v[16:17], v16
	s_wait_dscnt 0x1
	v_mul_f32_e32 v49, v146, v20
	v_fma_f32 v42, v143, v3, -v44
	v_mul_f64_e32 v[0:1], s[2:3], v[0:1]
	v_cvt_f64_f32_e32 v[2:3], v41
	v_mul_f32_e32 v48, v146, v21
	v_cvt_f64_f32_e32 v[40:41], v43
	v_mul_f64_e32 v[30:31], s[2:3], v[30:31]
	v_cvt_f64_f32_e32 v[42:43], v42
	s_delay_alu instid0(VALU_DEP_4)
	v_fmac_f32_e32 v48, v145, v20
	s_wait_dscnt 0x0
	v_mul_f32_e32 v44, v136, v7
	v_mul_f32_e32 v45, v136, v6
	v_mul_f64_e32 v[32:33], s[2:3], v[32:33]
	v_add_co_u32 v20, s0, s8, v36
	v_mul_f64_e32 v[26:27], s[2:3], v[26:27]
	v_fmac_f32_e32 v44, v135, v6
	v_fma_f32 v45, v135, v7, -v45
	s_wait_alu 0xf1ff
	v_add_co_ci_u32_e64 v52, s0, s9, v37, s0
	v_add_co_u32 v38, s0, v20, v38
	v_mul_f64_e32 v[14:15], s[2:3], v[14:15]
	v_mul_f64_e32 v[28:29], s[2:3], v[28:29]
	s_wait_alu 0xf1ff
	v_add_co_ci_u32_e64 v39, s0, v52, v39, s0
	v_mul_f64_e32 v[34:35], s[2:3], v[34:35]
	s_wait_alu 0xfffe
	v_add_co_u32 v54, s0, v38, s10
	s_wait_alu 0xf1ff
	v_add_co_ci_u32_e64 v55, s0, s11, v39, s0
	s_delay_alu instid0(VALU_DEP_2) | instskip(SKIP_2) | instid1(VALU_DEP_3)
	v_add_co_u32 v56, s0, v54, s10
	v_mul_f64_e32 v[16:17], s[2:3], v[16:17]
	s_wait_alu 0xf1ff
	v_add_co_ci_u32_e64 v57, s0, s11, v55, s0
	s_delay_alu instid0(VALU_DEP_3)
	v_add_co_u32 v58, s0, v56, s10
	v_cvt_f32_f64_e32 v0, v[0:1]
	v_cvt_f32_f64_e32 v1, v[24:25]
	v_mul_f64_e32 v[2:3], s[2:3], v[2:3]
	v_mul_f64_e32 v[40:41], s[2:3], v[40:41]
	s_wait_alu 0xf1ff
	v_add_co_ci_u32_e64 v59, s0, s11, v57, s0
	v_mul_f64_e32 v[42:43], s[2:3], v[42:43]
	v_cvt_f32_f64_e32 v24, v[26:27]
	v_cvt_f32_f64_e32 v26, v[32:33]
	ds_load_b64 v[32:33], v161 offset:8880
	v_fmac_f32_e32 v46, v137, v10
	v_cvt_f64_f32_e32 v[10:11], v45
	v_mul_f32_e32 v45, v128, v4
	v_cvt_f64_f32_e32 v[6:7], v44
	v_cvt_f32_f64_e32 v25, v[14:15]
	v_cvt_f32_f64_e32 v14, v[28:29]
	v_fma_f32 v28, v145, v21, -v49
	v_cvt_f64_f32_e32 v[20:21], v47
	v_cvt_f32_f64_e32 v27, v[34:35]
	v_fma_f32 v34, v139, v19, -v51
	v_dual_mul_f32 v47, v130, v8 :: v_dual_fmac_f32 v50, v139, v18
	v_mul_f32_e32 v51, v132, v22
	v_cvt_f64_f32_e32 v[18:19], v48
	v_mul_f32_e32 v48, v134, v13
	v_cvt_f64_f32_e32 v[28:29], v28
	v_cvt_f32_f64_e32 v15, v[30:31]
	v_mul_f32_e32 v44, v128, v5
	v_cvt_f64_f32_e32 v[30:31], v50
	s_wait_dscnt 0x0
	v_mul_f32_e32 v53, v142, v32
	v_cvt_f64_f32_e32 v[36:37], v46
	v_mul_f32_e32 v46, v130, v9
	v_fmac_f32_e32 v48, v133, v12
	v_mul_f32_e32 v12, v134, v12
	v_mul_f32_e32 v50, v132, v23
	;; [unrolled: 1-line block ×3, first 2 shown]
	v_fmac_f32_e32 v44, v127, v4
	v_fma_f32 v45, v127, v5, -v45
	v_fmac_f32_e32 v46, v129, v8
	v_fma_f32 v47, v129, v9, -v47
	v_fma_f32 v12, v133, v13, -v12
	v_fmac_f32_e32 v50, v131, v22
	v_fma_f32 v51, v131, v23, -v51
	v_fmac_f32_e32 v52, v141, v32
	v_fma_f32 v53, v141, v33, -v53
	v_cvt_f64_f32_e32 v[34:35], v34
	v_cvt_f64_f32_e32 v[4:5], v44
	;; [unrolled: 1-line block ×11, first 2 shown]
	v_mul_f64_e32 v[6:7], s[2:3], v[6:7]
	v_mul_f64_e32 v[10:11], s[2:3], v[10:11]
	s_clause 0x3
	global_store_b64 v[38:39], v[0:1], off
	global_store_b64 v[54:55], v[24:25], off
	;; [unrolled: 1-line block ×4, first 2 shown]
	v_mul_f64_e32 v[14:15], s[2:3], v[20:21]
	v_mul_f64_e32 v[18:19], s[2:3], v[18:19]
	;; [unrolled: 1-line block ×3, first 2 shown]
	v_cvt_f32_f64_e32 v2, v[2:3]
	v_cvt_f32_f64_e32 v3, v[16:17]
	v_mul_f64_e32 v[0:1], s[2:3], v[36:37]
	v_mul_f64_e32 v[16:17], s[2:3], v[30:31]
	v_add_co_u32 v38, s0, v58, s10
	s_wait_alu 0xf1ff
	v_add_co_ci_u32_e64 v39, s0, s11, v59, s0
	v_cvt_f32_f64_e32 v40, v[40:41]
	v_cvt_f32_f64_e32 v41, v[42:43]
	s_movk_i32 s0, 0xfc8b
	s_mov_b32 s1, -1
	s_wait_alu 0xfffe
	s_mul_u64 s[0:1], s[4:5], s[0:1]
	s_wait_alu 0xfffe
	s_lshl_b64 s[4:5], s[0:1], 3
	v_mul_f64_e32 v[24:25], s[2:3], v[34:35]
	v_mul_f64_e32 v[4:5], s[2:3], v[4:5]
	;; [unrolled: 1-line block ×11, first 2 shown]
	v_cvt_f32_f64_e32 v6, v[6:7]
	v_cvt_f32_f64_e32 v7, v[10:11]
	s_wait_alu 0xfffe
	v_add_co_u32 v42, s0, v38, s4
	s_wait_alu 0xf1ff
	v_add_co_ci_u32_e64 v43, s0, s5, v39, s0
	s_delay_alu instid0(VALU_DEP_2) | instskip(SKIP_1) | instid1(VALU_DEP_2)
	v_add_co_u32 v10, s0, v42, s10
	s_wait_alu 0xf1ff
	v_add_co_ci_u32_e64 v11, s0, s11, v43, s0
	global_store_b64 v[38:39], v[2:3], off
	v_cvt_f32_f64_e32 v0, v[0:1]
	v_cvt_f32_f64_e32 v1, v[14:15]
	;; [unrolled: 1-line block ×4, first 2 shown]
	v_add_co_u32 v18, s0, v10, s10
	s_wait_alu 0xf1ff
	v_add_co_ci_u32_e64 v19, s0, s11, v11, s0
	v_cvt_f32_f64_e32 v16, v[16:17]
	global_store_b64 v[42:43], v[40:41], off
	v_cvt_f32_f64_e32 v17, v[24:25]
	v_cvt_f32_f64_e32 v4, v[4:5]
	;; [unrolled: 1-line block ×5, first 2 shown]
	v_add_co_u32 v24, s0, v18, s10
	v_cvt_f32_f64_e32 v20, v[30:31]
	v_cvt_f32_f64_e32 v21, v[12:13]
	;; [unrolled: 1-line block ×4, first 2 shown]
	s_wait_alu 0xf1ff
	v_add_co_ci_u32_e64 v25, s0, s11, v19, s0
	v_cvt_f32_f64_e32 v22, v[34:35]
	v_cvt_f32_f64_e32 v23, v[36:37]
	v_add_co_u32 v2, s0, v24, s10
	s_wait_alu 0xf1ff
	v_add_co_ci_u32_e64 v3, s0, s11, v25, s0
	global_store_b64 v[10:11], v[6:7], off
	v_add_co_u32 v26, s0, v2, s4
	s_wait_alu 0xf1ff
	v_add_co_ci_u32_e64 v27, s0, s5, v3, s0
	global_store_b64 v[18:19], v[0:1], off
	;; [unrolled: 4-line block ×3, first 2 shown]
	v_add_co_u32 v10, s0, v6, s10
	s_wait_alu 0xf1ff
	v_add_co_ci_u32_e64 v11, s0, s11, v7, s0
	s_delay_alu instid0(VALU_DEP_2) | instskip(SKIP_1) | instid1(VALU_DEP_2)
	v_add_co_u32 v14, s0, v10, s10
	s_wait_alu 0xf1ff
	v_add_co_ci_u32_e64 v15, s0, s11, v11, s0
	global_store_b64 v[2:3], v[16:17], off
	v_add_co_u32 v0, s0, v14, s10
	s_wait_alu 0xf1ff
	v_add_co_ci_u32_e64 v1, s0, s11, v15, s0
	global_store_b64 v[26:27], v[4:5], off
	global_store_b64 v[6:7], v[8:9], off
	;; [unrolled: 1-line block ×5, first 2 shown]
	s_and_b32 exec_lo, exec_lo, vcc_lo
	s_cbranch_execz .LBB0_31
; %bb.30:
	global_load_b64 v[2:3], v[124:125], off offset:1800
	ds_load_b64 v[4:5], v164 offset:1800
	s_wait_loadcnt_dscnt 0x0
	v_mul_f32_e32 v6, v5, v3
	v_mul_f32_e32 v3, v4, v3
	s_delay_alu instid0(VALU_DEP_2) | instskip(NEXT) | instid1(VALU_DEP_2)
	v_fmac_f32_e32 v6, v4, v2
	v_fma_f32 v4, v2, v5, -v3
	s_delay_alu instid0(VALU_DEP_2) | instskip(NEXT) | instid1(VALU_DEP_2)
	v_cvt_f64_f32_e32 v[2:3], v6
	v_cvt_f64_f32_e32 v[4:5], v4
	s_delay_alu instid0(VALU_DEP_2) | instskip(NEXT) | instid1(VALU_DEP_2)
	v_mul_f64_e32 v[2:3], s[2:3], v[2:3]
	v_mul_f64_e32 v[4:5], s[2:3], v[4:5]
	s_delay_alu instid0(VALU_DEP_2) | instskip(NEXT) | instid1(VALU_DEP_2)
	v_cvt_f32_f64_e32 v2, v[2:3]
	v_cvt_f32_f64_e32 v3, v[4:5]
	v_add_co_u32 v4, vcc_lo, v0, s4
	s_wait_alu 0xfffd
	v_add_co_ci_u32_e32 v5, vcc_lo, s5, v1, vcc_lo
	v_add_nc_u32_e32 v0, 0xe80, v161
	global_store_b64 v[4:5], v[2:3], off
	global_load_b64 v[6:7], v[124:125], off offset:3720
	ds_load_2addr_b64 v[0:3], v0 offset0:1 offset1:241
	v_add_co_u32 v4, vcc_lo, v4, s10
	s_wait_alu 0xfffd
	v_add_co_ci_u32_e32 v5, vcc_lo, s11, v5, vcc_lo
	s_wait_loadcnt_dscnt 0x0
	v_mul_f32_e32 v8, v1, v7
	v_mul_f32_e32 v7, v0, v7
	s_delay_alu instid0(VALU_DEP_2) | instskip(NEXT) | instid1(VALU_DEP_2)
	v_fmac_f32_e32 v8, v0, v6
	v_fma_f32 v6, v6, v1, -v7
	s_delay_alu instid0(VALU_DEP_2) | instskip(NEXT) | instid1(VALU_DEP_2)
	v_cvt_f64_f32_e32 v[0:1], v8
	v_cvt_f64_f32_e32 v[6:7], v6
	s_delay_alu instid0(VALU_DEP_2) | instskip(NEXT) | instid1(VALU_DEP_2)
	v_mul_f64_e32 v[0:1], s[2:3], v[0:1]
	v_mul_f64_e32 v[6:7], s[2:3], v[6:7]
	s_delay_alu instid0(VALU_DEP_2) | instskip(NEXT) | instid1(VALU_DEP_2)
	v_cvt_f32_f64_e32 v0, v[0:1]
	v_cvt_f32_f64_e32 v1, v[6:7]
	global_store_b64 v[4:5], v[0:1], off
	global_load_b64 v[0:1], v[124:125], off offset:5640
	v_add_co_u32 v4, vcc_lo, v4, s10
	s_wait_alu 0xfffd
	v_add_co_ci_u32_e32 v5, vcc_lo, s11, v5, vcc_lo
	s_wait_loadcnt 0x0
	v_mul_f32_e32 v6, v3, v1
	v_mul_f32_e32 v1, v2, v1
	s_delay_alu instid0(VALU_DEP_2) | instskip(NEXT) | instid1(VALU_DEP_2)
	v_fmac_f32_e32 v6, v2, v0
	v_fma_f32 v2, v0, v3, -v1
	s_delay_alu instid0(VALU_DEP_2) | instskip(NEXT) | instid1(VALU_DEP_2)
	v_cvt_f64_f32_e32 v[0:1], v6
	v_cvt_f64_f32_e32 v[2:3], v2
	s_delay_alu instid0(VALU_DEP_2) | instskip(NEXT) | instid1(VALU_DEP_2)
	v_mul_f64_e32 v[0:1], s[2:3], v[0:1]
	v_mul_f64_e32 v[2:3], s[2:3], v[2:3]
	s_delay_alu instid0(VALU_DEP_2) | instskip(NEXT) | instid1(VALU_DEP_2)
	v_cvt_f32_f64_e32 v0, v[0:1]
	v_cvt_f32_f64_e32 v1, v[2:3]
	global_store_b64 v[4:5], v[0:1], off
	global_load_b64 v[6:7], v[124:125], off offset:7560
	v_add_nc_u32_e32 v0, 0x1d80, v161
	v_add_co_u32 v4, vcc_lo, v4, s10
	s_wait_alu 0xfffd
	v_add_co_ci_u32_e32 v5, vcc_lo, s11, v5, vcc_lo
	ds_load_2addr_b64 v[0:3], v0 offset0:1 offset1:241
	s_wait_loadcnt_dscnt 0x0
	v_mul_f32_e32 v8, v1, v7
	v_mul_f32_e32 v7, v0, v7
	s_delay_alu instid0(VALU_DEP_2) | instskip(NEXT) | instid1(VALU_DEP_2)
	v_fmac_f32_e32 v8, v0, v6
	v_fma_f32 v6, v6, v1, -v7
	s_delay_alu instid0(VALU_DEP_2) | instskip(NEXT) | instid1(VALU_DEP_2)
	v_cvt_f64_f32_e32 v[0:1], v8
	v_cvt_f64_f32_e32 v[6:7], v6
	s_delay_alu instid0(VALU_DEP_2) | instskip(NEXT) | instid1(VALU_DEP_2)
	v_mul_f64_e32 v[0:1], s[2:3], v[0:1]
	v_mul_f64_e32 v[6:7], s[2:3], v[6:7]
	s_delay_alu instid0(VALU_DEP_2) | instskip(NEXT) | instid1(VALU_DEP_2)
	v_cvt_f32_f64_e32 v0, v[0:1]
	v_cvt_f32_f64_e32 v1, v[6:7]
	global_store_b64 v[4:5], v[0:1], off
	global_load_b64 v[0:1], v[124:125], off offset:9480
	s_wait_loadcnt 0x0
	v_mul_f32_e32 v6, v3, v1
	v_mul_f32_e32 v1, v2, v1
	s_delay_alu instid0(VALU_DEP_2) | instskip(NEXT) | instid1(VALU_DEP_2)
	v_fmac_f32_e32 v6, v2, v0
	v_fma_f32 v2, v0, v3, -v1
	s_delay_alu instid0(VALU_DEP_2) | instskip(NEXT) | instid1(VALU_DEP_2)
	v_cvt_f64_f32_e32 v[0:1], v6
	v_cvt_f64_f32_e32 v[2:3], v2
	s_delay_alu instid0(VALU_DEP_2) | instskip(NEXT) | instid1(VALU_DEP_2)
	v_mul_f64_e32 v[0:1], s[2:3], v[0:1]
	v_mul_f64_e32 v[2:3], s[2:3], v[2:3]
	s_delay_alu instid0(VALU_DEP_2) | instskip(NEXT) | instid1(VALU_DEP_2)
	v_cvt_f32_f64_e32 v0, v[0:1]
	v_cvt_f32_f64_e32 v1, v[2:3]
	v_add_co_u32 v2, vcc_lo, v4, s10
	s_wait_alu 0xfffd
	v_add_co_ci_u32_e32 v3, vcc_lo, s11, v5, vcc_lo
	global_store_b64 v[2:3], v[0:1], off
.LBB0_31:
	s_nop 0
	s_sendmsg sendmsg(MSG_DEALLOC_VGPRS)
	s_endpgm
	.section	.rodata,"a",@progbits
	.p2align	6, 0x0
	.amdhsa_kernel bluestein_single_fwd_len1200_dim1_sp_op_CI_CI
		.amdhsa_group_segment_fixed_size 28800
		.amdhsa_private_segment_fixed_size 0
		.amdhsa_kernarg_size 104
		.amdhsa_user_sgpr_count 2
		.amdhsa_user_sgpr_dispatch_ptr 0
		.amdhsa_user_sgpr_queue_ptr 0
		.amdhsa_user_sgpr_kernarg_segment_ptr 1
		.amdhsa_user_sgpr_dispatch_id 0
		.amdhsa_user_sgpr_private_segment_size 0
		.amdhsa_wavefront_size32 1
		.amdhsa_uses_dynamic_stack 0
		.amdhsa_enable_private_segment 0
		.amdhsa_system_sgpr_workgroup_id_x 1
		.amdhsa_system_sgpr_workgroup_id_y 0
		.amdhsa_system_sgpr_workgroup_id_z 0
		.amdhsa_system_sgpr_workgroup_info 0
		.amdhsa_system_vgpr_workitem_id 0
		.amdhsa_next_free_vgpr 225
		.amdhsa_next_free_sgpr 18
		.amdhsa_reserve_vcc 1
		.amdhsa_float_round_mode_32 0
		.amdhsa_float_round_mode_16_64 0
		.amdhsa_float_denorm_mode_32 3
		.amdhsa_float_denorm_mode_16_64 3
		.amdhsa_fp16_overflow 0
		.amdhsa_workgroup_processor_mode 1
		.amdhsa_memory_ordered 1
		.amdhsa_forward_progress 0
		.amdhsa_round_robin_scheduling 0
		.amdhsa_exception_fp_ieee_invalid_op 0
		.amdhsa_exception_fp_denorm_src 0
		.amdhsa_exception_fp_ieee_div_zero 0
		.amdhsa_exception_fp_ieee_overflow 0
		.amdhsa_exception_fp_ieee_underflow 0
		.amdhsa_exception_fp_ieee_inexact 0
		.amdhsa_exception_int_div_zero 0
	.end_amdhsa_kernel
	.text
.Lfunc_end0:
	.size	bluestein_single_fwd_len1200_dim1_sp_op_CI_CI, .Lfunc_end0-bluestein_single_fwd_len1200_dim1_sp_op_CI_CI
                                        ; -- End function
	.section	.AMDGPU.csdata,"",@progbits
; Kernel info:
; codeLenInByte = 19056
; NumSgprs: 20
; NumVgprs: 225
; ScratchSize: 0
; MemoryBound: 0
; FloatMode: 240
; IeeeMode: 1
; LDSByteSize: 28800 bytes/workgroup (compile time only)
; SGPRBlocks: 2
; VGPRBlocks: 28
; NumSGPRsForWavesPerEU: 20
; NumVGPRsForWavesPerEU: 225
; Occupancy: 6
; WaveLimiterHint : 1
; COMPUTE_PGM_RSRC2:SCRATCH_EN: 0
; COMPUTE_PGM_RSRC2:USER_SGPR: 2
; COMPUTE_PGM_RSRC2:TRAP_HANDLER: 0
; COMPUTE_PGM_RSRC2:TGID_X_EN: 1
; COMPUTE_PGM_RSRC2:TGID_Y_EN: 0
; COMPUTE_PGM_RSRC2:TGID_Z_EN: 0
; COMPUTE_PGM_RSRC2:TIDIG_COMP_CNT: 0
	.text
	.p2alignl 7, 3214868480
	.fill 96, 4, 3214868480
	.type	__hip_cuid_20151579012e1ba,@object ; @__hip_cuid_20151579012e1ba
	.section	.bss,"aw",@nobits
	.globl	__hip_cuid_20151579012e1ba
__hip_cuid_20151579012e1ba:
	.byte	0                               ; 0x0
	.size	__hip_cuid_20151579012e1ba, 1

	.ident	"AMD clang version 19.0.0git (https://github.com/RadeonOpenCompute/llvm-project roc-6.4.0 25133 c7fe45cf4b819c5991fe208aaa96edf142730f1d)"
	.section	".note.GNU-stack","",@progbits
	.addrsig
	.addrsig_sym __hip_cuid_20151579012e1ba
	.amdgpu_metadata
---
amdhsa.kernels:
  - .args:
      - .actual_access:  read_only
        .address_space:  global
        .offset:         0
        .size:           8
        .value_kind:     global_buffer
      - .actual_access:  read_only
        .address_space:  global
        .offset:         8
        .size:           8
        .value_kind:     global_buffer
      - .actual_access:  read_only
        .address_space:  global
        .offset:         16
        .size:           8
        .value_kind:     global_buffer
      - .actual_access:  read_only
        .address_space:  global
        .offset:         24
        .size:           8
        .value_kind:     global_buffer
      - .actual_access:  read_only
        .address_space:  global
        .offset:         32
        .size:           8
        .value_kind:     global_buffer
      - .offset:         40
        .size:           8
        .value_kind:     by_value
      - .address_space:  global
        .offset:         48
        .size:           8
        .value_kind:     global_buffer
      - .address_space:  global
        .offset:         56
        .size:           8
        .value_kind:     global_buffer
      - .address_space:  global
        .offset:         64
        .size:           8
        .value_kind:     global_buffer
      - .address_space:  global
        .offset:         72
        .size:           8
        .value_kind:     global_buffer
      - .offset:         80
        .size:           4
        .value_kind:     by_value
      - .address_space:  global
        .offset:         88
        .size:           8
        .value_kind:     global_buffer
      - .address_space:  global
        .offset:         96
        .size:           8
        .value_kind:     global_buffer
    .group_segment_fixed_size: 28800
    .kernarg_segment_align: 8
    .kernarg_segment_size: 104
    .language:       OpenCL C
    .language_version:
      - 2
      - 0
    .max_flat_workgroup_size: 225
    .name:           bluestein_single_fwd_len1200_dim1_sp_op_CI_CI
    .private_segment_fixed_size: 0
    .sgpr_count:     20
    .sgpr_spill_count: 0
    .symbol:         bluestein_single_fwd_len1200_dim1_sp_op_CI_CI.kd
    .uniform_work_group_size: 1
    .uses_dynamic_stack: false
    .vgpr_count:     225
    .vgpr_spill_count: 0
    .wavefront_size: 32
    .workgroup_processor_mode: 1
amdhsa.target:   amdgcn-amd-amdhsa--gfx1201
amdhsa.version:
  - 1
  - 2
...

	.end_amdgpu_metadata
